;; amdgpu-corpus repo=ROCm/rocFFT kind=compiled arch=gfx1100 opt=O3
	.text
	.amdgcn_target "amdgcn-amd-amdhsa--gfx1100"
	.amdhsa_code_object_version 6
	.protected	fft_rtc_fwd_len1716_factors_13_2_6_11_wgs_156_tpt_156_dp_op_CI_CI_unitstride_sbrr_C2R_dirReg ; -- Begin function fft_rtc_fwd_len1716_factors_13_2_6_11_wgs_156_tpt_156_dp_op_CI_CI_unitstride_sbrr_C2R_dirReg
	.globl	fft_rtc_fwd_len1716_factors_13_2_6_11_wgs_156_tpt_156_dp_op_CI_CI_unitstride_sbrr_C2R_dirReg
	.p2align	8
	.type	fft_rtc_fwd_len1716_factors_13_2_6_11_wgs_156_tpt_156_dp_op_CI_CI_unitstride_sbrr_C2R_dirReg,@function
fft_rtc_fwd_len1716_factors_13_2_6_11_wgs_156_tpt_156_dp_op_CI_CI_unitstride_sbrr_C2R_dirReg: ; @fft_rtc_fwd_len1716_factors_13_2_6_11_wgs_156_tpt_156_dp_op_CI_CI_unitstride_sbrr_C2R_dirReg
; %bb.0:
	s_clause 0x2
	s_load_b128 s[8:11], s[0:1], 0x0
	s_load_b128 s[4:7], s[0:1], 0x58
	;; [unrolled: 1-line block ×3, first 2 shown]
	v_mul_u32_u24_e32 v1, 0x1a5, v0
	v_mov_b32_e32 v3, 0
	s_delay_alu instid0(VALU_DEP_2) | instskip(NEXT) | instid1(VALU_DEP_1)
	v_lshrrev_b32_e32 v1, 16, v1
	v_add_nc_u32_e32 v5, s15, v1
	v_mov_b32_e32 v1, 0
	v_mov_b32_e32 v2, 0
	;; [unrolled: 1-line block ×3, first 2 shown]
	s_waitcnt lgkmcnt(0)
	v_cmp_lt_u64_e64 s2, s[10:11], 2
	s_delay_alu instid0(VALU_DEP_1)
	s_and_b32 vcc_lo, exec_lo, s2
	s_cbranch_vccnz .LBB0_8
; %bb.1:
	s_load_b64 s[2:3], s[0:1], 0x10
	v_mov_b32_e32 v1, 0
	v_mov_b32_e32 v2, 0
	s_add_u32 s12, s18, 8
	s_addc_u32 s13, s19, 0
	s_add_u32 s14, s16, 8
	s_addc_u32 s15, s17, 0
	v_dual_mov_b32 v61, v2 :: v_dual_mov_b32 v60, v1
	s_mov_b64 s[22:23], 1
	s_waitcnt lgkmcnt(0)
	s_add_u32 s20, s2, 8
	s_addc_u32 s21, s3, 0
.LBB0_2:                                ; =>This Inner Loop Header: Depth=1
	s_load_b64 s[24:25], s[20:21], 0x0
                                        ; implicit-def: $vgpr64_vgpr65
	s_mov_b32 s2, exec_lo
	s_waitcnt lgkmcnt(0)
	v_or_b32_e32 v4, s25, v6
	s_delay_alu instid0(VALU_DEP_1)
	v_cmpx_ne_u64_e32 0, v[3:4]
	s_xor_b32 s3, exec_lo, s2
	s_cbranch_execz .LBB0_4
; %bb.3:                                ;   in Loop: Header=BB0_2 Depth=1
	v_cvt_f32_u32_e32 v4, s24
	v_cvt_f32_u32_e32 v7, s25
	s_sub_u32 s2, 0, s24
	s_subb_u32 s26, 0, s25
	s_delay_alu instid0(VALU_DEP_1) | instskip(NEXT) | instid1(VALU_DEP_1)
	v_fmac_f32_e32 v4, 0x4f800000, v7
	v_rcp_f32_e32 v4, v4
	s_waitcnt_depctr 0xfff
	v_mul_f32_e32 v4, 0x5f7ffffc, v4
	s_delay_alu instid0(VALU_DEP_1) | instskip(NEXT) | instid1(VALU_DEP_1)
	v_mul_f32_e32 v7, 0x2f800000, v4
	v_trunc_f32_e32 v7, v7
	s_delay_alu instid0(VALU_DEP_1) | instskip(SKIP_1) | instid1(VALU_DEP_2)
	v_fmac_f32_e32 v4, 0xcf800000, v7
	v_cvt_u32_f32_e32 v7, v7
	v_cvt_u32_f32_e32 v4, v4
	s_delay_alu instid0(VALU_DEP_2) | instskip(NEXT) | instid1(VALU_DEP_2)
	v_mul_lo_u32 v8, s2, v7
	v_mul_hi_u32 v9, s2, v4
	v_mul_lo_u32 v10, s26, v4
	s_delay_alu instid0(VALU_DEP_2) | instskip(SKIP_1) | instid1(VALU_DEP_2)
	v_add_nc_u32_e32 v8, v9, v8
	v_mul_lo_u32 v9, s2, v4
	v_add_nc_u32_e32 v8, v8, v10
	s_delay_alu instid0(VALU_DEP_2) | instskip(NEXT) | instid1(VALU_DEP_2)
	v_mul_hi_u32 v10, v4, v9
	v_mul_lo_u32 v11, v4, v8
	v_mul_hi_u32 v12, v4, v8
	v_mul_hi_u32 v13, v7, v9
	v_mul_lo_u32 v9, v7, v9
	v_mul_hi_u32 v14, v7, v8
	v_mul_lo_u32 v8, v7, v8
	v_add_co_u32 v10, vcc_lo, v10, v11
	v_add_co_ci_u32_e32 v11, vcc_lo, 0, v12, vcc_lo
	s_delay_alu instid0(VALU_DEP_2) | instskip(NEXT) | instid1(VALU_DEP_2)
	v_add_co_u32 v9, vcc_lo, v10, v9
	v_add_co_ci_u32_e32 v9, vcc_lo, v11, v13, vcc_lo
	v_add_co_ci_u32_e32 v10, vcc_lo, 0, v14, vcc_lo
	s_delay_alu instid0(VALU_DEP_2) | instskip(NEXT) | instid1(VALU_DEP_2)
	v_add_co_u32 v8, vcc_lo, v9, v8
	v_add_co_ci_u32_e32 v9, vcc_lo, 0, v10, vcc_lo
	s_delay_alu instid0(VALU_DEP_2) | instskip(NEXT) | instid1(VALU_DEP_2)
	v_add_co_u32 v4, vcc_lo, v4, v8
	v_add_co_ci_u32_e32 v7, vcc_lo, v7, v9, vcc_lo
	s_delay_alu instid0(VALU_DEP_2) | instskip(SKIP_1) | instid1(VALU_DEP_3)
	v_mul_hi_u32 v8, s2, v4
	v_mul_lo_u32 v10, s26, v4
	v_mul_lo_u32 v9, s2, v7
	s_delay_alu instid0(VALU_DEP_1) | instskip(SKIP_1) | instid1(VALU_DEP_2)
	v_add_nc_u32_e32 v8, v8, v9
	v_mul_lo_u32 v9, s2, v4
	v_add_nc_u32_e32 v8, v8, v10
	s_delay_alu instid0(VALU_DEP_2) | instskip(NEXT) | instid1(VALU_DEP_2)
	v_mul_hi_u32 v10, v4, v9
	v_mul_lo_u32 v11, v4, v8
	v_mul_hi_u32 v12, v4, v8
	v_mul_hi_u32 v13, v7, v9
	v_mul_lo_u32 v9, v7, v9
	v_mul_hi_u32 v14, v7, v8
	v_mul_lo_u32 v8, v7, v8
	v_add_co_u32 v10, vcc_lo, v10, v11
	v_add_co_ci_u32_e32 v11, vcc_lo, 0, v12, vcc_lo
	s_delay_alu instid0(VALU_DEP_2) | instskip(NEXT) | instid1(VALU_DEP_2)
	v_add_co_u32 v9, vcc_lo, v10, v9
	v_add_co_ci_u32_e32 v9, vcc_lo, v11, v13, vcc_lo
	v_add_co_ci_u32_e32 v10, vcc_lo, 0, v14, vcc_lo
	s_delay_alu instid0(VALU_DEP_2) | instskip(NEXT) | instid1(VALU_DEP_2)
	v_add_co_u32 v8, vcc_lo, v9, v8
	v_add_co_ci_u32_e32 v9, vcc_lo, 0, v10, vcc_lo
	s_delay_alu instid0(VALU_DEP_2) | instskip(NEXT) | instid1(VALU_DEP_2)
	v_add_co_u32 v4, vcc_lo, v4, v8
	v_add_co_ci_u32_e32 v13, vcc_lo, v7, v9, vcc_lo
	s_delay_alu instid0(VALU_DEP_2) | instskip(SKIP_1) | instid1(VALU_DEP_3)
	v_mul_hi_u32 v14, v5, v4
	v_mad_u64_u32 v[9:10], null, v6, v4, 0
	v_mad_u64_u32 v[7:8], null, v5, v13, 0
	;; [unrolled: 1-line block ×3, first 2 shown]
	s_delay_alu instid0(VALU_DEP_2) | instskip(NEXT) | instid1(VALU_DEP_3)
	v_add_co_u32 v4, vcc_lo, v14, v7
	v_add_co_ci_u32_e32 v7, vcc_lo, 0, v8, vcc_lo
	s_delay_alu instid0(VALU_DEP_2) | instskip(NEXT) | instid1(VALU_DEP_2)
	v_add_co_u32 v4, vcc_lo, v4, v9
	v_add_co_ci_u32_e32 v4, vcc_lo, v7, v10, vcc_lo
	v_add_co_ci_u32_e32 v7, vcc_lo, 0, v12, vcc_lo
	s_delay_alu instid0(VALU_DEP_2) | instskip(NEXT) | instid1(VALU_DEP_2)
	v_add_co_u32 v4, vcc_lo, v4, v11
	v_add_co_ci_u32_e32 v9, vcc_lo, 0, v7, vcc_lo
	s_delay_alu instid0(VALU_DEP_2) | instskip(SKIP_1) | instid1(VALU_DEP_3)
	v_mul_lo_u32 v10, s25, v4
	v_mad_u64_u32 v[7:8], null, s24, v4, 0
	v_mul_lo_u32 v11, s24, v9
	s_delay_alu instid0(VALU_DEP_2) | instskip(NEXT) | instid1(VALU_DEP_2)
	v_sub_co_u32 v7, vcc_lo, v5, v7
	v_add3_u32 v8, v8, v11, v10
	s_delay_alu instid0(VALU_DEP_1) | instskip(NEXT) | instid1(VALU_DEP_1)
	v_sub_nc_u32_e32 v10, v6, v8
	v_subrev_co_ci_u32_e64 v10, s2, s25, v10, vcc_lo
	v_add_co_u32 v11, s2, v4, 2
	s_delay_alu instid0(VALU_DEP_1) | instskip(SKIP_3) | instid1(VALU_DEP_3)
	v_add_co_ci_u32_e64 v12, s2, 0, v9, s2
	v_sub_co_u32 v13, s2, v7, s24
	v_sub_co_ci_u32_e32 v8, vcc_lo, v6, v8, vcc_lo
	v_subrev_co_ci_u32_e64 v10, s2, 0, v10, s2
	v_cmp_le_u32_e32 vcc_lo, s24, v13
	s_delay_alu instid0(VALU_DEP_3) | instskip(SKIP_1) | instid1(VALU_DEP_4)
	v_cmp_eq_u32_e64 s2, s25, v8
	v_cndmask_b32_e64 v13, 0, -1, vcc_lo
	v_cmp_le_u32_e32 vcc_lo, s25, v10
	v_cndmask_b32_e64 v14, 0, -1, vcc_lo
	v_cmp_le_u32_e32 vcc_lo, s24, v7
	;; [unrolled: 2-line block ×3, first 2 shown]
	v_cndmask_b32_e64 v15, 0, -1, vcc_lo
	v_cmp_eq_u32_e32 vcc_lo, s25, v10
	s_delay_alu instid0(VALU_DEP_2) | instskip(SKIP_3) | instid1(VALU_DEP_3)
	v_cndmask_b32_e64 v7, v15, v7, s2
	v_cndmask_b32_e32 v10, v14, v13, vcc_lo
	v_add_co_u32 v13, vcc_lo, v4, 1
	v_add_co_ci_u32_e32 v14, vcc_lo, 0, v9, vcc_lo
	v_cmp_ne_u32_e32 vcc_lo, 0, v10
	s_delay_alu instid0(VALU_DEP_2) | instskip(NEXT) | instid1(VALU_DEP_4)
	v_cndmask_b32_e32 v8, v14, v12, vcc_lo
	v_cndmask_b32_e32 v10, v13, v11, vcc_lo
	v_cmp_ne_u32_e32 vcc_lo, 0, v7
	s_delay_alu instid0(VALU_DEP_2)
	v_dual_cndmask_b32 v65, v9, v8 :: v_dual_cndmask_b32 v64, v4, v10
.LBB0_4:                                ;   in Loop: Header=BB0_2 Depth=1
	s_and_not1_saveexec_b32 s2, s3
	s_cbranch_execz .LBB0_6
; %bb.5:                                ;   in Loop: Header=BB0_2 Depth=1
	v_cvt_f32_u32_e32 v4, s24
	s_sub_i32 s3, 0, s24
	v_mov_b32_e32 v65, v3
	s_delay_alu instid0(VALU_DEP_2) | instskip(SKIP_2) | instid1(VALU_DEP_1)
	v_rcp_iflag_f32_e32 v4, v4
	s_waitcnt_depctr 0xfff
	v_mul_f32_e32 v4, 0x4f7ffffe, v4
	v_cvt_u32_f32_e32 v4, v4
	s_delay_alu instid0(VALU_DEP_1) | instskip(NEXT) | instid1(VALU_DEP_1)
	v_mul_lo_u32 v7, s3, v4
	v_mul_hi_u32 v7, v4, v7
	s_delay_alu instid0(VALU_DEP_1) | instskip(NEXT) | instid1(VALU_DEP_1)
	v_add_nc_u32_e32 v4, v4, v7
	v_mul_hi_u32 v4, v5, v4
	s_delay_alu instid0(VALU_DEP_1) | instskip(SKIP_1) | instid1(VALU_DEP_2)
	v_mul_lo_u32 v7, v4, s24
	v_add_nc_u32_e32 v8, 1, v4
	v_sub_nc_u32_e32 v7, v5, v7
	s_delay_alu instid0(VALU_DEP_1) | instskip(SKIP_1) | instid1(VALU_DEP_2)
	v_subrev_nc_u32_e32 v9, s24, v7
	v_cmp_le_u32_e32 vcc_lo, s24, v7
	v_dual_cndmask_b32 v7, v7, v9 :: v_dual_cndmask_b32 v4, v4, v8
	s_delay_alu instid0(VALU_DEP_1) | instskip(NEXT) | instid1(VALU_DEP_2)
	v_cmp_le_u32_e32 vcc_lo, s24, v7
	v_add_nc_u32_e32 v8, 1, v4
	s_delay_alu instid0(VALU_DEP_1)
	v_cndmask_b32_e32 v64, v4, v8, vcc_lo
.LBB0_6:                                ;   in Loop: Header=BB0_2 Depth=1
	s_or_b32 exec_lo, exec_lo, s2
	s_delay_alu instid0(VALU_DEP_1) | instskip(NEXT) | instid1(VALU_DEP_2)
	v_mul_lo_u32 v4, v65, s24
	v_mul_lo_u32 v9, v64, s25
	s_load_b64 s[2:3], s[14:15], 0x0
	v_mad_u64_u32 v[7:8], null, v64, s24, 0
	s_load_b64 s[24:25], s[12:13], 0x0
	s_add_u32 s22, s22, 1
	s_addc_u32 s23, s23, 0
	s_add_u32 s12, s12, 8
	s_addc_u32 s13, s13, 0
	s_add_u32 s14, s14, 8
	s_delay_alu instid0(VALU_DEP_1) | instskip(SKIP_3) | instid1(VALU_DEP_2)
	v_add3_u32 v4, v8, v9, v4
	v_sub_co_u32 v8, vcc_lo, v5, v7
	s_addc_u32 s15, s15, 0
	s_add_u32 s20, s20, 8
	v_sub_co_ci_u32_e32 v6, vcc_lo, v6, v4, vcc_lo
	s_addc_u32 s21, s21, 0
	s_waitcnt lgkmcnt(0)
	s_delay_alu instid0(VALU_DEP_1)
	v_mul_lo_u32 v9, s2, v6
	v_mul_lo_u32 v10, s3, v8
	v_mad_u64_u32 v[4:5], null, s2, v8, v[1:2]
	v_mul_lo_u32 v11, s24, v6
	v_mul_lo_u32 v12, s25, v8
	v_mad_u64_u32 v[6:7], null, s24, v8, v[60:61]
	v_cmp_ge_u64_e64 s2, s[22:23], s[10:11]
	v_add3_u32 v2, v10, v5, v9
	s_delay_alu instid0(VALU_DEP_3) | instskip(NEXT) | instid1(VALU_DEP_4)
	v_dual_mov_b32 v1, v4 :: v_dual_mov_b32 v60, v6
	v_add3_u32 v61, v12, v7, v11
	s_delay_alu instid0(VALU_DEP_4)
	s_and_b32 vcc_lo, exec_lo, s2
	s_cbranch_vccnz .LBB0_9
; %bb.7:                                ;   in Loop: Header=BB0_2 Depth=1
	v_dual_mov_b32 v5, v64 :: v_dual_mov_b32 v6, v65
	s_branch .LBB0_2
.LBB0_8:
	v_dual_mov_b32 v61, v2 :: v_dual_mov_b32 v60, v1
	v_dual_mov_b32 v65, v6 :: v_dual_mov_b32 v64, v5
.LBB0_9:
	s_load_b64 s[0:1], s[0:1], 0x28
	v_mul_hi_u32 v3, 0x1a41a42, v0
	s_lshl_b64 s[10:11], s[10:11], 3
                                        ; implicit-def: $vgpr62
	s_delay_alu instid0(SALU_CYCLE_1) | instskip(SKIP_4) | instid1(VALU_DEP_1)
	s_add_u32 s2, s18, s10
	s_addc_u32 s3, s19, s11
	s_waitcnt lgkmcnt(0)
	v_cmp_gt_u64_e32 vcc_lo, s[0:1], v[64:65]
	v_cmp_le_u64_e64 s0, s[0:1], v[64:65]
	s_and_saveexec_b32 s1, s0
	s_delay_alu instid0(SALU_CYCLE_1)
	s_xor_b32 s0, exec_lo, s1
; %bb.10:
	v_mul_u32_u24_e32 v1, 0x9c, v3
                                        ; implicit-def: $vgpr3
	s_delay_alu instid0(VALU_DEP_1)
	v_sub_nc_u32_e32 v62, v0, v1
                                        ; implicit-def: $vgpr0
                                        ; implicit-def: $vgpr1_vgpr2
; %bb.11:
	s_or_saveexec_b32 s1, s0
	s_load_b64 s[2:3], s[2:3], 0x0
	s_xor_b32 exec_lo, exec_lo, s1
	s_cbranch_execz .LBB0_15
; %bb.12:
	s_add_u32 s10, s16, s10
	s_addc_u32 s11, s17, s11
	v_lshlrev_b64 v[1:2], 4, v[1:2]
	s_load_b64 s[10:11], s[10:11], 0x0
	s_waitcnt lgkmcnt(0)
	v_mul_lo_u32 v6, s11, v64
	v_mul_lo_u32 v7, s10, v65
	v_mad_u64_u32 v[4:5], null, s10, v64, 0
	s_delay_alu instid0(VALU_DEP_1) | instskip(SKIP_1) | instid1(VALU_DEP_2)
	v_add3_u32 v5, v5, v7, v6
	v_mul_u32_u24_e32 v6, 0x9c, v3
	v_lshlrev_b64 v[3:4], 4, v[4:5]
	s_delay_alu instid0(VALU_DEP_2) | instskip(NEXT) | instid1(VALU_DEP_1)
	v_sub_nc_u32_e32 v62, v0, v6
	v_lshlrev_b32_e32 v46, 4, v62
	s_delay_alu instid0(VALU_DEP_3) | instskip(NEXT) | instid1(VALU_DEP_1)
	v_add_co_u32 v0, s0, s4, v3
	v_add_co_ci_u32_e64 v3, s0, s5, v4, s0
	s_mov_b32 s4, exec_lo
	s_delay_alu instid0(VALU_DEP_2) | instskip(NEXT) | instid1(VALU_DEP_1)
	v_add_co_u32 v0, s0, v0, v1
	v_add_co_ci_u32_e64 v1, s0, v3, v2, s0
	s_delay_alu instid0(VALU_DEP_2) | instskip(NEXT) | instid1(VALU_DEP_1)
	v_add_co_u32 v10, s0, v0, v46
	v_add_co_ci_u32_e64 v11, s0, 0, v1, s0
	s_clause 0x1
	global_load_b128 v[2:5], v[10:11], off
	global_load_b128 v[6:9], v[10:11], off offset:2496
	v_add_co_u32 v14, s0, 0x1000, v10
	s_delay_alu instid0(VALU_DEP_1) | instskip(SKIP_1) | instid1(VALU_DEP_1)
	v_add_co_ci_u32_e64 v15, s0, 0, v11, s0
	v_add_co_u32 v18, s0, 0x2000, v10
	v_add_co_ci_u32_e64 v19, s0, 0, v11, s0
	v_add_co_u32 v26, s0, 0x3000, v10
	s_delay_alu instid0(VALU_DEP_1) | instskip(SKIP_1) | instid1(VALU_DEP_1)
	v_add_co_ci_u32_e64 v27, s0, 0, v11, s0
	v_add_co_u32 v34, s0, 0x4000, v10
	v_add_co_ci_u32_e64 v35, s0, 0, v11, s0
	;; [unrolled: 5-line block ×3, first 2 shown]
	s_clause 0x8
	global_load_b128 v[10:13], v[14:15], off offset:896
	global_load_b128 v[14:17], v[14:15], off offset:3392
	;; [unrolled: 1-line block ×9, first 2 shown]
	v_add_nc_u32_e32 v46, 0, v46
	s_waitcnt vmcnt(10)
	ds_store_b128 v46, v[2:5]
	s_waitcnt vmcnt(9)
	ds_store_b128 v46, v[6:9] offset:2496
	s_waitcnt vmcnt(8)
	ds_store_b128 v46, v[10:13] offset:4992
	s_waitcnt vmcnt(7)
	ds_store_b128 v46, v[14:17] offset:7488
	s_waitcnt vmcnt(6)
	ds_store_b128 v46, v[18:21] offset:9984
	s_waitcnt vmcnt(5)
	ds_store_b128 v46, v[22:25] offset:12480
	s_waitcnt vmcnt(4)
	ds_store_b128 v46, v[26:29] offset:14976
	s_waitcnt vmcnt(3)
	ds_store_b128 v46, v[30:33] offset:17472
	s_waitcnt vmcnt(2)
	ds_store_b128 v46, v[34:37] offset:19968
	s_waitcnt vmcnt(1)
	ds_store_b128 v46, v[38:41] offset:22464
	s_waitcnt vmcnt(0)
	ds_store_b128 v46, v[42:45] offset:24960
	v_cmpx_eq_u32_e32 0x9b, v62
	s_cbranch_execz .LBB0_14
; %bb.13:
	v_add_co_u32 v0, s0, 0x6000, v0
	s_delay_alu instid0(VALU_DEP_1)
	v_add_co_ci_u32_e64 v1, s0, 0, v1, s0
	v_mov_b32_e32 v4, 0
	v_mov_b32_e32 v62, 0x9b
	global_load_b128 v[0:3], v[0:1], off offset:2880
	s_waitcnt vmcnt(0)
	ds_store_b128 v4, v[0:3] offset:27456
.LBB0_14:
	s_or_b32 exec_lo, exec_lo, s4
.LBB0_15:
	s_delay_alu instid0(SALU_CYCLE_1)
	s_or_b32 exec_lo, exec_lo, s1
	v_lshlrev_b32_e32 v0, 4, v62
	s_waitcnt lgkmcnt(0)
	s_barrier
	buffer_gl0_inv
	s_add_u32 s1, s8, 0x6a70
	v_add_nc_u32_e32 v162, 0, v0
	v_sub_nc_u32_e32 v10, 0, v0
	s_addc_u32 s4, s9, 0
	s_mov_b32 s5, exec_lo
                                        ; implicit-def: $vgpr4_vgpr5
	ds_load_b64 v[6:7], v162
	ds_load_b64 v[8:9], v10 offset:27456
	s_waitcnt lgkmcnt(0)
	v_add_f64 v[0:1], v[6:7], v[8:9]
	v_add_f64 v[2:3], v[6:7], -v[8:9]
	v_cmpx_ne_u32_e32 0, v62
	s_xor_b32 s5, exec_lo, s5
	s_cbranch_execz .LBB0_17
; %bb.16:
	v_mov_b32_e32 v63, 0
	v_add_f64 v[13:14], v[6:7], v[8:9]
	v_add_f64 v[15:16], v[6:7], -v[8:9]
	s_delay_alu instid0(VALU_DEP_3) | instskip(NEXT) | instid1(VALU_DEP_1)
	v_lshlrev_b64 v[0:1], 4, v[62:63]
	v_add_co_u32 v0, s0, s1, v0
	s_delay_alu instid0(VALU_DEP_1)
	v_add_co_ci_u32_e64 v1, s0, s4, v1, s0
	global_load_b128 v[2:5], v[0:1], off
	ds_load_b64 v[0:1], v10 offset:27464
	ds_load_b64 v[11:12], v162 offset:8
	s_waitcnt lgkmcnt(0)
	v_add_f64 v[6:7], v[0:1], v[11:12]
	v_add_f64 v[0:1], v[11:12], -v[0:1]
	s_waitcnt vmcnt(0)
	v_fma_f64 v[8:9], v[15:16], v[4:5], v[13:14]
	v_fma_f64 v[11:12], -v[15:16], v[4:5], v[13:14]
	s_delay_alu instid0(VALU_DEP_3) | instskip(SKIP_1) | instid1(VALU_DEP_4)
	v_fma_f64 v[13:14], v[6:7], v[4:5], -v[0:1]
	v_fma_f64 v[4:5], v[6:7], v[4:5], v[0:1]
	v_fma_f64 v[0:1], -v[6:7], v[2:3], v[8:9]
	s_delay_alu instid0(VALU_DEP_4) | instskip(NEXT) | instid1(VALU_DEP_4)
	v_fma_f64 v[6:7], v[6:7], v[2:3], v[11:12]
	v_fma_f64 v[8:9], v[15:16], v[2:3], v[13:14]
	s_delay_alu instid0(VALU_DEP_4)
	v_fma_f64 v[2:3], v[15:16], v[2:3], v[4:5]
	v_dual_mov_b32 v4, v62 :: v_dual_mov_b32 v5, v63
	ds_store_b128 v10, v[6:9] offset:27456
.LBB0_17:
	s_and_not1_saveexec_b32 s0, s5
	s_cbranch_execz .LBB0_19
; %bb.18:
	v_mov_b32_e32 v8, 0
	ds_load_b128 v[4:7], v8 offset:13728
	s_waitcnt lgkmcnt(0)
	v_add_f64 v[11:12], v[4:5], v[4:5]
	v_mul_f64 v[13:14], v[6:7], -2.0
	v_mov_b32_e32 v4, 0
	v_mov_b32_e32 v5, 0
	ds_store_b128 v8, v[11:14] offset:13728
.LBB0_19:
	s_or_b32 exec_lo, exec_lo, s0
	v_lshlrev_b64 v[4:5], 4, v[4:5]
	ds_store_b128 v162, v[0:3]
	v_add_co_u32 v4, s0, s1, v4
	s_delay_alu instid0(VALU_DEP_1) | instskip(NEXT) | instid1(VALU_DEP_2)
	v_add_co_ci_u32_e64 v5, s0, s4, v5, s0
	v_add_co_u32 v19, s0, 0x1000, v4
	global_load_b128 v[6:9], v[4:5], off offset:2496
	v_add_co_ci_u32_e64 v20, s0, 0, v5, s0
	global_load_b128 v[11:14], v[19:20], off offset:896
	ds_load_b128 v[0:3], v162 offset:2496
	ds_load_b128 v[15:18], v10 offset:24960
	global_load_b128 v[19:22], v[19:20], off offset:3392
	s_waitcnt lgkmcnt(0)
	v_add_f64 v[23:24], v[0:1], v[15:16]
	v_add_f64 v[25:26], v[17:18], v[2:3]
	v_add_f64 v[27:28], v[0:1], -v[15:16]
	v_add_f64 v[0:1], v[2:3], -v[17:18]
	s_waitcnt vmcnt(2)
	s_delay_alu instid0(VALU_DEP_2) | instskip(NEXT) | instid1(VALU_DEP_2)
	v_fma_f64 v[2:3], v[27:28], v[8:9], v[23:24]
	v_fma_f64 v[15:16], v[25:26], v[8:9], v[0:1]
	v_fma_f64 v[17:18], -v[27:28], v[8:9], v[23:24]
	v_fma_f64 v[8:9], v[25:26], v[8:9], -v[0:1]
	s_delay_alu instid0(VALU_DEP_4) | instskip(NEXT) | instid1(VALU_DEP_4)
	v_fma_f64 v[0:1], -v[25:26], v[6:7], v[2:3]
	v_fma_f64 v[2:3], v[27:28], v[6:7], v[15:16]
	s_delay_alu instid0(VALU_DEP_4) | instskip(NEXT) | instid1(VALU_DEP_4)
	v_fma_f64 v[15:16], v[25:26], v[6:7], v[17:18]
	v_fma_f64 v[17:18], v[27:28], v[6:7], v[8:9]
	ds_store_b128 v162, v[0:3] offset:2496
	ds_store_b128 v10, v[15:18] offset:24960
	ds_load_b128 v[0:3], v162 offset:4992
	ds_load_b128 v[6:9], v10 offset:22464
	v_add_co_u32 v15, s0, 0x2000, v4
	s_delay_alu instid0(VALU_DEP_1)
	v_add_co_ci_u32_e64 v16, s0, 0, v5, s0
	v_cmp_gt_u32_e64 s0, 0x4e, v62
	global_load_b128 v[15:18], v[15:16], off offset:1792
	s_waitcnt lgkmcnt(0)
	v_add_f64 v[23:24], v[0:1], v[6:7]
	v_add_f64 v[25:26], v[8:9], v[2:3]
	v_add_f64 v[27:28], v[0:1], -v[6:7]
	v_add_f64 v[0:1], v[2:3], -v[8:9]
	s_waitcnt vmcnt(2)
	s_delay_alu instid0(VALU_DEP_2) | instskip(NEXT) | instid1(VALU_DEP_2)
	v_fma_f64 v[2:3], v[27:28], v[13:14], v[23:24]
	v_fma_f64 v[6:7], v[25:26], v[13:14], v[0:1]
	v_fma_f64 v[8:9], -v[27:28], v[13:14], v[23:24]
	v_fma_f64 v[13:14], v[25:26], v[13:14], -v[0:1]
	s_delay_alu instid0(VALU_DEP_4) | instskip(NEXT) | instid1(VALU_DEP_4)
	v_fma_f64 v[0:1], -v[25:26], v[11:12], v[2:3]
	v_fma_f64 v[2:3], v[27:28], v[11:12], v[6:7]
	s_delay_alu instid0(VALU_DEP_4) | instskip(NEXT) | instid1(VALU_DEP_4)
	v_fma_f64 v[6:7], v[25:26], v[11:12], v[8:9]
	v_fma_f64 v[8:9], v[27:28], v[11:12], v[13:14]
	ds_store_b128 v162, v[0:3] offset:4992
	ds_store_b128 v10, v[6:9] offset:22464
	ds_load_b128 v[0:3], v162 offset:7488
	ds_load_b128 v[6:9], v10 offset:19968
	s_waitcnt lgkmcnt(0)
	v_add_f64 v[11:12], v[0:1], v[6:7]
	v_add_f64 v[13:14], v[8:9], v[2:3]
	v_add_f64 v[23:24], v[0:1], -v[6:7]
	v_add_f64 v[0:1], v[2:3], -v[8:9]
	s_waitcnt vmcnt(1)
	s_delay_alu instid0(VALU_DEP_2) | instskip(NEXT) | instid1(VALU_DEP_2)
	v_fma_f64 v[2:3], v[23:24], v[21:22], v[11:12]
	v_fma_f64 v[6:7], v[13:14], v[21:22], v[0:1]
	v_fma_f64 v[8:9], -v[23:24], v[21:22], v[11:12]
	v_fma_f64 v[11:12], v[13:14], v[21:22], -v[0:1]
	s_delay_alu instid0(VALU_DEP_4) | instskip(NEXT) | instid1(VALU_DEP_4)
	v_fma_f64 v[0:1], -v[13:14], v[19:20], v[2:3]
	v_fma_f64 v[2:3], v[23:24], v[19:20], v[6:7]
	s_delay_alu instid0(VALU_DEP_4) | instskip(NEXT) | instid1(VALU_DEP_4)
	v_fma_f64 v[6:7], v[13:14], v[19:20], v[8:9]
	v_fma_f64 v[8:9], v[23:24], v[19:20], v[11:12]
	ds_store_b128 v162, v[0:3] offset:7488
	ds_store_b128 v10, v[6:9] offset:19968
	ds_load_b128 v[0:3], v162 offset:9984
	ds_load_b128 v[6:9], v10 offset:17472
	s_waitcnt lgkmcnt(0)
	v_add_f64 v[11:12], v[0:1], v[6:7]
	v_add_f64 v[13:14], v[8:9], v[2:3]
	v_add_f64 v[19:20], v[0:1], -v[6:7]
	v_add_f64 v[0:1], v[2:3], -v[8:9]
	s_waitcnt vmcnt(0)
	s_delay_alu instid0(VALU_DEP_2) | instskip(NEXT) | instid1(VALU_DEP_2)
	v_fma_f64 v[2:3], v[19:20], v[17:18], v[11:12]
	v_fma_f64 v[6:7], v[13:14], v[17:18], v[0:1]
	v_fma_f64 v[8:9], -v[19:20], v[17:18], v[11:12]
	v_fma_f64 v[11:12], v[13:14], v[17:18], -v[0:1]
	s_delay_alu instid0(VALU_DEP_4) | instskip(NEXT) | instid1(VALU_DEP_4)
	v_fma_f64 v[0:1], -v[13:14], v[15:16], v[2:3]
	v_fma_f64 v[2:3], v[19:20], v[15:16], v[6:7]
	s_delay_alu instid0(VALU_DEP_4) | instskip(NEXT) | instid1(VALU_DEP_4)
	v_fma_f64 v[6:7], v[13:14], v[15:16], v[8:9]
	v_fma_f64 v[8:9], v[19:20], v[15:16], v[11:12]
	ds_store_b128 v162, v[0:3] offset:9984
	ds_store_b128 v10, v[6:9] offset:17472
	s_and_saveexec_b32 s4, s0
	s_cbranch_execz .LBB0_21
; %bb.20:
	v_add_co_u32 v0, s1, 0x3000, v4
	s_delay_alu instid0(VALU_DEP_1)
	v_add_co_ci_u32_e64 v1, s1, 0, v5, s1
	global_load_b128 v[0:3], v[0:1], off offset:192
	ds_load_b128 v[4:7], v162 offset:12480
	ds_load_b128 v[11:14], v10 offset:14976
	s_waitcnt lgkmcnt(0)
	v_add_f64 v[8:9], v[4:5], v[11:12]
	v_add_f64 v[15:16], v[13:14], v[6:7]
	v_add_f64 v[11:12], v[4:5], -v[11:12]
	v_add_f64 v[4:5], v[6:7], -v[13:14]
	s_waitcnt vmcnt(0)
	s_delay_alu instid0(VALU_DEP_2) | instskip(NEXT) | instid1(VALU_DEP_2)
	v_fma_f64 v[6:7], v[11:12], v[2:3], v[8:9]
	v_fma_f64 v[13:14], v[15:16], v[2:3], v[4:5]
	v_fma_f64 v[8:9], -v[11:12], v[2:3], v[8:9]
	v_fma_f64 v[17:18], v[15:16], v[2:3], -v[4:5]
	s_delay_alu instid0(VALU_DEP_4) | instskip(NEXT) | instid1(VALU_DEP_4)
	v_fma_f64 v[2:3], -v[15:16], v[0:1], v[6:7]
	v_fma_f64 v[4:5], v[11:12], v[0:1], v[13:14]
	s_delay_alu instid0(VALU_DEP_4) | instskip(NEXT) | instid1(VALU_DEP_4)
	v_fma_f64 v[6:7], v[15:16], v[0:1], v[8:9]
	v_fma_f64 v[8:9], v[11:12], v[0:1], v[17:18]
	ds_store_b128 v162, v[2:5] offset:12480
	ds_store_b128 v10, v[6:9] offset:14976
.LBB0_21:
	s_or_b32 exec_lo, exec_lo, s4
	s_waitcnt lgkmcnt(0)
	s_barrier
	buffer_gl0_inv
	s_barrier
	buffer_gl0_inv
	ds_load_b128 v[8:11], v162 offset:25344
	ds_load_b128 v[44:47], v162 offset:2112
	ds_load_b128 v[20:23], v162
	ds_load_b128 v[12:15], v162 offset:23232
	ds_load_b128 v[52:55], v162 offset:4224
	ds_load_b128 v[48:51], v162 offset:6336
	s_mov_b32 s4, 0x42a4c3d2
	s_mov_b32 s10, 0x66966769
	;; [unrolled: 1-line block ×4, first 2 shown]
	ds_load_b128 v[16:19], v162 offset:21120
	s_mov_b32 s12, 0x1ea71119
	s_mov_b32 s16, 0x2ef20147
	;; [unrolled: 1-line block ×8, first 2 shown]
	ds_load_b128 v[24:27], v162 offset:19008
	ds_load_b128 v[56:59], v162 offset:8448
	s_mov_b32 s20, 0xb2365da1
	s_mov_b32 s18, 0x93053d00
	;; [unrolled: 1-line block ×3, first 2 shown]
	s_waitcnt lgkmcnt(7)
	v_add_f64 v[98:99], v[46:47], -v[10:11]
	v_add_f64 v[92:93], v[44:45], -v[8:9]
	s_waitcnt lgkmcnt(4)
	v_add_f64 v[130:131], v[54:55], -v[14:15]
	v_add_f64 v[84:85], v[52:53], -v[12:13]
	v_add_f64 v[88:89], v[44:45], v[8:9]
	v_add_f64 v[158:159], v[46:47], v[10:11]
	;; [unrolled: 1-line block ×3, first 2 shown]
	s_waitcnt lgkmcnt(2)
	v_add_f64 v[152:153], v[50:51], -v[18:19]
	v_add_f64 v[104:105], v[48:49], -v[16:17]
	v_add_f64 v[154:155], v[54:55], v[14:15]
	s_mov_b32 s19, 0xbfef11f4
	s_mov_b32 s23, 0x3fedeba7
	;; [unrolled: 1-line block ×3, first 2 shown]
	v_add_f64 v[100:101], v[48:49], v[16:17]
	v_add_f64 v[156:157], v[50:51], v[18:19]
	ds_load_b128 v[40:43], v162 offset:10560
	ds_load_b128 v[28:31], v162 offset:16896
	s_waitcnt lgkmcnt(2)
	v_add_f64 v[90:91], v[58:59], -v[26:27]
	v_add_f64 v[82:83], v[56:57], -v[24:25]
	s_mov_b32 s26, 0x24c2f84
	s_mov_b32 s36, 0x4267c47c
	;; [unrolled: 1-line block ×4, first 2 shown]
	v_add_f64 v[86:87], v[56:57], v[24:25]
	v_add_f64 v[160:161], v[58:59], v[26:27]
	s_mov_b32 s30, 0xd0032e0c
	s_mov_b32 s34, 0xe00740e9
	;; [unrolled: 1-line block ×8, first 2 shown]
	s_mov_b32 s33, exec_lo
	s_waitcnt lgkmcnt(0)
	v_add_f64 v[96:97], v[42:43], -v[30:31]
	v_add_f64 v[70:71], v[40:41], -v[28:29]
	v_mul_f64 v[112:113], v[98:99], s[4:5]
	v_mul_f64 v[116:117], v[92:93], s[4:5]
	;; [unrolled: 1-line block ×12, first 2 shown]
	v_add_f64 v[78:79], v[40:41], v[28:29]
	v_add_f64 v[150:151], v[42:43], v[30:31]
	v_mul_f64 v[126:127], v[90:91], s[26:27]
	v_mul_f64 v[128:129], v[82:83], s[26:27]
	;; [unrolled: 1-line block ×6, first 2 shown]
	v_fma_f64 v[0:1], v[88:89], s[12:13], v[112:113]
	v_fma_f64 v[2:3], v[158:159], s[12:13], -v[116:117]
	v_fma_f64 v[4:5], v[88:89], s[24:25], v[138:139]
	v_fma_f64 v[6:7], v[158:159], s[24:25], -v[142:143]
	;; [unrolled: 2-line block ×6, first 2 shown]
	v_mul_f64 v[144:145], v[96:97], s[4:5]
	v_mul_f64 v[148:149], v[70:71], s[4:5]
	v_fma_f64 v[163:164], v[86:87], s[30:31], v[126:127]
	v_fma_f64 v[165:166], v[160:161], s[30:31], -v[128:129]
	v_fma_f64 v[167:168], v[86:87], s[34:35], v[132:133]
	v_fma_f64 v[169:170], v[160:161], s[34:35], -v[146:147]
	;; [unrolled: 2-line block ×3, first 2 shown]
	v_add_f64 v[0:1], v[20:21], v[0:1]
	v_add_f64 v[2:3], v[22:23], v[2:3]
	;; [unrolled: 1-line block ×4, first 2 shown]
	v_fma_f64 v[175:176], v[78:79], s[12:13], v[144:145]
	v_fma_f64 v[177:178], v[150:151], s[12:13], -v[148:149]
	v_add_f64 v[0:1], v[32:33], v[0:1]
	v_add_f64 v[2:3], v[34:35], v[2:3]
	;; [unrolled: 1-line block ×4, first 2 shown]
	ds_load_b128 v[36:39], v162 offset:12672
	ds_load_b128 v[32:35], v162 offset:14784
	s_waitcnt lgkmcnt(0)
	s_barrier
	buffer_gl0_inv
	v_add_f64 v[102:103], v[38:39], -v[34:35]
	v_add_f64 v[66:67], v[36:37], -v[32:33]
	v_add_f64 v[108:109], v[38:39], v[34:35]
	v_add_f64 v[0:1], v[68:69], v[0:1]
	;; [unrolled: 1-line block ×6, first 2 shown]
	v_mul_f64 v[72:73], v[102:103], s[36:37]
	v_mul_f64 v[74:75], v[66:67], s[36:37]
	;; [unrolled: 1-line block ×4, first 2 shown]
	v_add_f64 v[0:1], v[163:164], v[0:1]
	v_add_f64 v[2:3], v[165:166], v[2:3]
	v_add_f64 v[4:5], v[167:168], v[4:5]
	v_add_f64 v[6:7], v[169:170], v[6:7]
	v_fma_f64 v[163:164], v[68:69], s[34:35], v[72:73]
	v_fma_f64 v[165:166], v[108:109], s[34:35], -v[74:75]
	v_fma_f64 v[167:168], v[68:69], s[30:31], v[76:77]
	v_fma_f64 v[169:170], v[108:109], s[30:31], -v[80:81]
	v_add_f64 v[0:1], v[171:172], v[0:1]
	v_add_f64 v[2:3], v[173:174], v[2:3]
	;; [unrolled: 1-line block ×4, first 2 shown]
	s_delay_alu instid0(VALU_DEP_4) | instskip(NEXT) | instid1(VALU_DEP_4)
	v_add_f64 v[4:5], v[163:164], v[0:1]
	v_add_f64 v[6:7], v[165:166], v[2:3]
	s_delay_alu instid0(VALU_DEP_4) | instskip(NEXT) | instid1(VALU_DEP_4)
	v_add_f64 v[0:1], v[167:168], v[171:172]
	v_add_f64 v[2:3], v[169:170], v[173:174]
	v_cmpx_gt_u32_e32 0x84, v62
	s_cbranch_execz .LBB0_23
; %bb.22:
	v_add_f64 v[46:47], v[22:23], v[46:47]
	v_add_f64 v[44:45], v[20:21], v[44:45]
	v_mul_f64 v[163:164], v[158:159], s[24:25]
	v_mul_f64 v[165:166], v[158:159], s[20:21]
	;; [unrolled: 1-line block ×5, first 2 shown]
	s_mov_b32 s43, 0xbfddbe06
	s_mov_b32 s42, s36
	v_mul_f64 v[185:186], v[94:95], s[18:19]
	v_mul_f64 v[169:170], v[98:99], s[16:17]
	v_mul_f64 v[187:188], v[150:151], s[24:25]
	v_mul_f64 v[201:202], v[94:95], s[20:21]
	s_mov_b32 s41, 0x3fcea1e5
	s_mov_b32 s40, s14
	v_mul_f64 v[179:180], v[156:157], s[20:21]
	v_mul_f64 v[181:182], v[154:155], s[18:19]
	;; [unrolled: 1-line block ×22, first 2 shown]
	s_mov_b32 s45, 0x3fea55e2
	v_add_f64 v[46:47], v[46:47], v[54:55]
	v_add_f64 v[44:45], v[44:45], v[52:53]
	v_mul_f64 v[52:53], v[158:159], s[30:31]
	v_mul_f64 v[54:55], v[98:99], s[38:39]
	v_add_f64 v[142:143], v[142:143], v[163:164]
	v_add_f64 v[138:139], v[167:168], -v[138:139]
	v_add_f64 v[116:117], v[116:117], v[173:174]
	v_fma_f64 v[173:174], v[92:93], s[22:23], v[165:166]
	v_fma_f64 v[165:166], v[92:93], s[16:17], v[165:166]
	v_add_f64 v[112:113], v[171:172], -v[112:113]
	v_add_f64 v[114:115], v[185:186], -v[114:115]
	v_add_f64 v[140:141], v[140:141], v[187:188]
	v_fma_f64 v[187:188], v[88:89], s[20:21], v[169:170]
	v_fma_f64 v[169:170], v[88:89], s[20:21], -v[169:170]
	v_add_f64 v[106:107], v[201:202], -v[106:107]
	s_mov_b32 s44, s4
	v_add_f64 v[122:123], v[122:123], v[181:182]
	v_add_f64 v[128:129], v[128:129], v[189:190]
	;; [unrolled: 1-line block ×4, first 2 shown]
	v_add_f64 v[126:127], v[195:196], -v[126:127]
	v_add_f64 v[134:135], v[197:198], -v[134:135]
	v_add_f64 v[118:119], v[199:200], -v[118:119]
	v_fma_f64 v[189:190], v[104:105], s[26:27], v[209:210]
	v_fma_f64 v[191:192], v[104:105], s[38:39], v[209:210]
	;; [unrolled: 1-line block ×9, first 2 shown]
	v_fma_f64 v[219:220], v[100:101], s[30:31], -v[221:222]
	v_mul_f64 v[225:226], v[152:153], s[36:37]
	v_mul_f64 v[152:153], v[152:153], s[10:11]
	;; [unrolled: 1-line block ×5, first 2 shown]
	v_add_f64 v[46:47], v[46:47], v[50:51]
	v_add_f64 v[44:45], v[44:45], v[48:49]
	v_mul_f64 v[50:51], v[98:99], s[14:15]
	v_mul_f64 v[48:49], v[158:159], s[18:19]
	;; [unrolled: 1-line block ×4, first 2 shown]
	v_fma_f64 v[167:168], v[92:93], s[26:27], v[52:53]
	v_fma_f64 v[52:53], v[92:93], s[38:39], v[52:53]
	;; [unrolled: 1-line block ×3, first 2 shown]
	v_fma_f64 v[54:55], v[88:89], s[30:31], -v[54:55]
	v_add_f64 v[165:166], v[22:23], v[165:166]
	v_add_f64 v[142:143], v[22:23], v[142:143]
	;; [unrolled: 1-line block ×8, first 2 shown]
	v_mul_f64 v[205:206], v[160:161], s[18:19]
	v_mul_f64 v[207:208], v[160:161], s[24:25]
	;; [unrolled: 1-line block ×5, first 2 shown]
	v_add_f64 v[136:137], v[136:137], v[179:180]
	v_mul_f64 v[183:184], v[78:79], s[12:13]
	v_mul_f64 v[237:238], v[150:151], s[20:21]
	;; [unrolled: 1-line block ×4, first 2 shown]
	v_add_f64 v[148:149], v[148:149], v[175:176]
	v_mul_f64 v[175:176], v[96:97], s[36:37]
	v_add_f64 v[146:147], v[146:147], v[177:178]
	v_add_f64 v[46:47], v[46:47], v[58:59]
	;; [unrolled: 1-line block ×3, first 2 shown]
	v_mul_f64 v[58:59], v[100:101], s[20:21]
	v_fma_f64 v[163:164], v[92:93], s[40:41], v[48:49]
	v_fma_f64 v[48:49], v[92:93], s[14:15], v[48:49]
	;; [unrolled: 1-line block ×5, first 2 shown]
	v_add_f64 v[167:168], v[22:23], v[167:168]
	v_add_f64 v[52:53], v[22:23], v[52:53]
	;; [unrolled: 1-line block ×8, first 2 shown]
	v_mul_f64 v[56:57], v[86:87], s[34:35]
	v_add_f64 v[112:113], v[114:115], v[138:139]
	v_add_f64 v[116:117], v[211:212], v[173:174]
	v_mul_f64 v[158:159], v[96:97], s[16:17]
	v_mul_f64 v[177:178], v[96:97], s[38:39]
	v_mul_f64 v[96:97], v[96:97], s[40:41]
	v_add_f64 v[144:145], v[183:184], -v[144:145]
	v_mul_f64 v[183:184], v[68:69], s[34:35]
	v_fma_f64 v[173:174], v[70:71], s[16:17], v[237:238]
	v_add_f64 v[42:43], v[46:47], v[42:43]
	v_add_f64 v[40:41], v[44:45], v[40:41]
	v_add_f64 v[58:59], v[58:59], -v[124:125]
	v_fma_f64 v[124:125], v[88:89], s[18:19], v[50:51]
	v_fma_f64 v[50:51], v[88:89], s[18:19], -v[50:51]
	v_fma_f64 v[88:89], v[88:89], s[34:35], -v[98:99]
	v_fma_f64 v[98:99], v[104:105], s[28:29], v[156:157]
	v_fma_f64 v[104:105], v[104:105], s[10:11], v[156:157]
	;; [unrolled: 1-line block ×4, first 2 shown]
	v_add_f64 v[163:164], v[22:23], v[163:164]
	v_add_f64 v[48:49], v[22:23], v[48:49]
	;; [unrolled: 1-line block ×5, first 2 shown]
	v_fma_f64 v[201:202], v[100:101], s[12:13], -v[223:224]
	v_mul_f64 v[44:45], v[150:151], s[34:35]
	v_mul_f64 v[46:47], v[150:151], s[18:19]
	v_add_f64 v[122:123], v[136:137], v[122:123]
	v_add_f64 v[110:111], v[120:121], v[110:111]
	;; [unrolled: 1-line block ×3, first 2 shown]
	v_add_f64 v[56:57], v[56:57], -v[132:133]
	v_mul_f64 v[150:151], v[150:151], s[30:31]
	v_fma_f64 v[118:119], v[78:79], s[34:35], -v[175:176]
	v_fma_f64 v[120:121], v[78:79], s[30:31], v[177:178]
	v_mul_f64 v[132:133], v[108:109], s[20:21]
	v_add_f64 v[72:73], v[183:184], -v[72:73]
	v_fma_f64 v[136:137], v[66:67], s[10:11], v[179:180]
	v_add_f64 v[38:39], v[42:43], v[38:39]
	v_add_f64 v[36:37], v[40:41], v[36:37]
	v_fma_f64 v[40:41], v[84:85], s[10:11], v[217:218]
	v_fma_f64 v[42:43], v[84:85], s[28:29], v[217:218]
	;; [unrolled: 1-line block ×5, first 2 shown]
	v_add_f64 v[124:125], v[20:21], v[124:125]
	v_fma_f64 v[221:222], v[94:95], s[34:35], -v[227:228]
	v_fma_f64 v[227:228], v[94:95], s[24:25], v[229:230]
	v_fma_f64 v[229:230], v[94:95], s[24:25], -v[229:230]
	v_add_f64 v[50:51], v[20:21], v[50:51]
	v_add_f64 v[20:21], v[20:21], v[88:89]
	v_fma_f64 v[88:89], v[100:101], s[12:13], v[223:224]
	v_fma_f64 v[223:224], v[94:95], s[30:31], -v[231:232]
	v_fma_f64 v[231:232], v[94:95], s[30:31], v[231:232]
	v_add_f64 v[48:49], v[209:210], v[48:49]
	v_add_f64 v[156:157], v[156:157], v[163:164]
	;; [unrolled: 1-line block ×4, first 2 shown]
	v_mul_f64 v[209:210], v[108:109], s[30:31]
	v_add_f64 v[106:107], v[126:127], v[106:107]
	v_mul_f64 v[163:164], v[68:69], s[30:31]
	v_fma_f64 v[171:172], v[70:71], s[22:23], v[237:238]
	v_add_f64 v[34:35], v[38:39], v[34:35]
	v_fma_f64 v[38:39], v[94:95], s[12:13], -v[130:131]
	v_add_f64 v[32:33], v[36:37], v[32:33]
	v_fma_f64 v[94:95], v[94:95], s[12:13], v[130:131]
	v_add_f64 v[40:41], v[40:41], v[167:168]
	v_mul_f64 v[167:168], v[90:91], s[44:45]
	v_mul_f64 v[90:91], v[90:91], s[40:41]
	v_add_f64 v[124:125], v[217:218], v[124:125]
	v_add_f64 v[42:43], v[42:43], v[52:53]
	v_fma_f64 v[36:37], v[100:101], s[34:35], v[225:226]
	v_add_f64 v[54:55], v[229:230], v[54:55]
	v_fma_f64 v[225:226], v[100:101], s[34:35], -v[225:226]
	v_add_f64 v[185:186], v[227:228], v[185:186]
	v_add_f64 v[50:51], v[221:222], v[50:51]
	;; [unrolled: 1-line block ×4, first 2 shown]
	v_fma_f64 v[130:131], v[100:101], s[24:25], v[152:153]
	v_fma_f64 v[100:101], v[100:101], s[24:25], -v[152:153]
	v_add_f64 v[22:23], v[84:85], v[22:23]
	v_fma_f64 v[52:53], v[82:83], s[4:5], v[203:204]
	v_fma_f64 v[203:204], v[82:83], s[44:45], v[203:204]
	;; [unrolled: 1-line block ×5, first 2 shown]
	v_fma_f64 v[169:170], v[86:87], s[20:21], -v[235:236]
	v_add_f64 v[48:49], v[191:192], v[48:49]
	v_add_f64 v[98:99], v[98:99], v[142:143]
	v_mul_f64 v[221:222], v[108:109], s[34:35]
	v_fma_f64 v[187:188], v[70:71], s[42:43], v[44:45]
	v_fma_f64 v[44:45], v[70:71], s[36:37], v[44:45]
	v_mul_f64 v[217:218], v[108:109], s[12:13]
	v_add_f64 v[56:57], v[56:57], v[58:59]
	v_mul_f64 v[152:153], v[102:103], s[16:17]
	v_mul_f64 v[108:109], v[108:109], s[18:19]
	;; [unrolled: 1-line block ×4, first 2 shown]
	v_add_f64 v[80:81], v[80:81], v[209:210]
	v_add_f64 v[76:77], v[163:164], -v[76:77]
	v_add_f64 v[30:31], v[34:35], v[30:31]
	v_add_f64 v[20:21], v[38:39], v[20:21]
	v_add_f64 v[28:29], v[32:33], v[28:29]
	v_add_f64 v[32:33], v[94:95], v[92:93]
	v_fma_f64 v[34:35], v[82:83], s[28:29], v[207:208]
	v_fma_f64 v[38:39], v[82:83], s[10:11], v[207:208]
	;; [unrolled: 1-line block ×4, first 2 shown]
	v_fma_f64 v[94:95], v[86:87], s[24:25], -v[233:234]
	v_fma_f64 v[160:161], v[86:87], s[20:21], v[235:236]
	v_fma_f64 v[207:208], v[86:87], s[12:13], v[167:168]
	v_fma_f64 v[167:168], v[86:87], s[12:13], -v[167:168]
	v_fma_f64 v[211:212], v[86:87], s[18:19], v[90:91]
	v_fma_f64 v[86:87], v[86:87], s[18:19], -v[90:91]
	v_add_f64 v[124:125], v[154:155], v[124:125]
	v_add_f64 v[42:43], v[195:196], v[42:43]
	;; [unrolled: 1-line block ×12, first 2 shown]
	v_fma_f64 v[104:105], v[78:79], s[20:21], -v[158:159]
	v_fma_f64 v[116:117], v[78:79], s[34:35], v[175:176]
	v_fma_f64 v[156:157], v[78:79], s[18:19], v[96:97]
	v_add_f64 v[48:49], v[203:204], v[48:49]
	v_add_f64 v[84:85], v[84:85], v[98:99]
	;; [unrolled: 1-line block ×3, first 2 shown]
	v_fma_f64 v[98:99], v[66:67], s[44:45], v[217:218]
	v_add_f64 v[56:57], v[144:145], v[56:57]
	v_fma_f64 v[138:139], v[68:69], s[24:25], v[181:182]
	v_fma_f64 v[142:143], v[66:67], s[28:29], v[179:180]
	v_add_f64 v[26:27], v[30:31], v[26:27]
	v_add_f64 v[20:21], v[100:101], v[20:21]
	;; [unrolled: 1-line block ×4, first 2 shown]
	v_fma_f64 v[32:33], v[70:71], s[40:41], v[46:47]
	v_fma_f64 v[100:101], v[78:79], s[20:21], v[158:159]
	v_fma_f64 v[130:131], v[78:79], s[30:31], -v[177:178]
	v_fma_f64 v[78:79], v[78:79], s[18:19], -v[96:97]
	v_add_f64 v[96:97], v[128:129], v[110:111]
	v_fma_f64 v[30:31], v[70:71], s[14:15], v[46:47]
	v_fma_f64 v[46:47], v[70:71], s[26:27], v[150:151]
	;; [unrolled: 1-line block ×3, first 2 shown]
	v_fma_f64 v[150:151], v[68:69], s[24:25], -v[181:182]
	v_fma_f64 v[110:111], v[66:67], s[40:41], v[108:109]
	v_add_f64 v[42:43], v[205:206], v[42:43]
	v_add_f64 v[54:55], v[86:87], v[54:55]
	;; [unrolled: 1-line block ×13, first 2 shown]
	v_fma_f64 v[82:83], v[66:67], s[16:17], v[132:133]
	v_fma_f64 v[92:93], v[68:69], s[20:21], -v[152:153]
	v_fma_f64 v[94:95], v[66:67], s[4:5], v[217:218]
	v_fma_f64 v[112:113], v[68:69], s[18:19], v[227:228]
	;; [unrolled: 1-line block ×3, first 2 shown]
	v_add_f64 v[48:49], v[173:174], v[48:49]
	v_add_f64 v[18:19], v[26:27], v[18:19]
	;; [unrolled: 1-line block ×5, first 2 shown]
	v_fma_f64 v[26:27], v[66:67], s[22:23], v[132:133]
	v_fma_f64 v[28:29], v[68:69], s[20:21], v[152:153]
	;; [unrolled: 1-line block ×3, first 2 shown]
	v_fma_f64 v[108:109], v[68:69], s[18:19], -v[227:228]
	v_fma_f64 v[68:69], v[68:69], s[12:13], -v[102:103]
	v_add_f64 v[46:47], v[46:47], v[84:85]
	v_add_f64 v[42:43], v[44:45], v[42:43]
	;; [unrolled: 1-line block ×38, first 2 shown]
	v_mad_u32_u24 v52, 0xc0, v62, v162
	v_add_f64 v[10:11], v[100:101], v[10:11]
	v_add_f64 v[48:49], v[108:109], v[84:85]
	;; [unrolled: 1-line block ×4, first 2 shown]
	ds_store_b128 v52, v[0:3] offset:160
	ds_store_b128 v52, v[4:7] offset:176
	;; [unrolled: 1-line block ×11, first 2 shown]
	ds_store_b128 v52, v[8:11]
	ds_store_b128 v52, v[44:47] offset:192
.LBB0_23:
	s_or_b32 exec_lo, exec_lo, s33
	s_waitcnt lgkmcnt(0)
	s_barrier
	buffer_gl0_inv
	ds_load_b128 v[16:19], v162
	ds_load_b128 v[24:27], v162 offset:2496
	ds_load_b128 v[8:11], v162 offset:16224
	;; [unrolled: 1-line block ×9, first 2 shown]
	s_and_saveexec_b32 s1, s0
	s_cbranch_execz .LBB0_25
; %bb.24:
	ds_load_b128 v[0:3], v162 offset:12480
	ds_load_b128 v[4:7], v162 offset:26208
.LBB0_25:
	s_or_b32 exec_lo, exec_lo, s1
	v_and_b32_e32 v49, 0xff, v62
	v_add_nc_u32_e32 v52, 0x138, v62
	v_add_nc_u32_e32 v48, 0x9c, v62
	;; [unrolled: 1-line block ×4, first 2 shown]
	v_mul_lo_u16 v50, 0x4f, v49
	v_and_b32_e32 v51, 0xffff, v52
	v_add_nc_u32_e32 v55, 0x30c, v62
	v_and_b32_e32 v49, 0xffff, v48
	v_and_b32_e32 v56, 0xffff, v53
	v_lshrrev_b16 v59, 10, v50
	v_and_b32_e32 v57, 0xffff, v54
	v_mul_u32_u24_e32 v51, 0x4ec5, v51
	v_and_b32_e32 v58, 0xffff, v55
	v_mul_u32_u24_e32 v49, 0x4ec5, v49
	v_mul_lo_u16 v63, v59, 13
	v_mul_u32_u24_e32 v56, 0x4ec5, v56
	v_mul_u32_u24_e32 v57, 0x4ec5, v57
	v_lshrrev_b32_e32 v97, 18, v51
	v_mul_u32_u24_e32 v58, 0x4ec5, v58
	v_sub_nc_u16 v63, v62, v63
	v_lshrrev_b32_e32 v96, 18, v49
	v_lshrrev_b32_e32 v98, 18, v56
	;; [unrolled: 1-line block ×4, first 2 shown]
	v_and_b32_e32 v57, 0xff, v63
	v_mul_lo_u16 v63, v97, 13
	v_mul_lo_u16 v56, v96, 13
	;; [unrolled: 1-line block ×3, first 2 shown]
	s_delay_alu instid0(VALU_DEP_4) | instskip(NEXT) | instid1(VALU_DEP_4)
	v_lshlrev_b32_e32 v100, 4, v57
	v_sub_nc_u16 v52, v52, v63
	v_mul_lo_u16 v57, v99, 13
	v_mul_lo_u16 v63, v51, 13
	v_sub_nc_u16 v56, v48, v56
	v_sub_nc_u16 v53, v53, v58
	v_and_b32_e32 v52, 0xffff, v52
	v_sub_nc_u16 v54, v54, v57
	v_sub_nc_u16 v55, v55, v63
	v_and_b32_e32 v56, 0xffff, v56
	v_and_b32_e32 v57, 0xffff, v53
	v_lshlrev_b32_e32 v101, 4, v52
	v_and_b32_e32 v52, 0xffff, v54
	v_and_b32_e32 v58, 0xffff, v55
	v_lshlrev_b32_e32 v63, 4, v56
	v_lshlrev_b32_e32 v102, 4, v57
	global_load_b128 v[53:56], v100, s[8:9]
	v_lshlrev_b32_e32 v103, 4, v52
	v_lshlrev_b32_e32 v52, 4, v58
	s_clause 0x4
	global_load_b128 v[66:69], v63, s[8:9]
	global_load_b128 v[70:73], v101, s[8:9]
	;; [unrolled: 1-line block ×5, first 2 shown]
	s_waitcnt vmcnt(0) lgkmcnt(0)
	s_barrier
	buffer_gl0_inv
	v_mul_f64 v[57:58], v[46:47], v[55:56]
	v_mul_f64 v[55:56], v[44:45], v[55:56]
	;; [unrolled: 1-line block ×12, first 2 shown]
	v_fma_f64 v[44:45], v[44:45], v[53:54], -v[57:58]
	v_fma_f64 v[46:47], v[46:47], v[53:54], v[55:56]
	v_fma_f64 v[8:9], v[8:9], v[66:67], -v[86:87]
	v_fma_f64 v[10:11], v[10:11], v[66:67], v[68:69]
	;; [unrolled: 2-line block ×6, first 2 shown]
	v_add_f64 v[40:41], v[16:17], -v[44:45]
	v_add_f64 v[42:43], v[18:19], -v[46:47]
	;; [unrolled: 1-line block ×12, first 2 shown]
	v_fma_f64 v[66:67], v[16:17], 2.0, -v[40:41]
	v_fma_f64 v[68:69], v[18:19], 2.0, -v[42:43]
	;; [unrolled: 1-line block ×12, first 2 shown]
	v_and_b32_e32 v28, 0xffff, v59
	v_mul_u32_u24_e32 v29, 0x1a0, v96
	v_mul_u32_u24_e32 v30, 0x1a0, v97
	;; [unrolled: 1-line block ×5, first 2 shown]
	v_add3_u32 v29, 0, v29, v63
	v_add3_u32 v30, 0, v30, v101
	;; [unrolled: 1-line block ×5, first 2 shown]
	ds_store_b128 v28, v[66:69]
	ds_store_b128 v28, v[40:43] offset:208
	ds_store_b128 v29, v[24:27]
	ds_store_b128 v29, v[44:47] offset:208
	;; [unrolled: 2-line block ×5, first 2 shown]
	s_and_saveexec_b32 s1, s0
	s_cbranch_execz .LBB0_27
; %bb.26:
	v_mul_lo_u16 v24, v51, 26
	s_delay_alu instid0(VALU_DEP_1) | instskip(NEXT) | instid1(VALU_DEP_1)
	v_and_b32_e32 v24, 0xffff, v24
	v_lshlrev_b32_e32 v24, 4, v24
	s_delay_alu instid0(VALU_DEP_1)
	v_add3_u32 v24, 0, v52, v24
	ds_store_b128 v24, v[0:3]
	ds_store_b128 v24, v[20:23] offset:208
.LBB0_27:
	s_or_b32 exec_lo, exec_lo, s1
	s_waitcnt lgkmcnt(0)
	s_barrier
	buffer_gl0_inv
	ds_load_b128 v[24:27], v162
	ds_load_b128 v[36:39], v162 offset:4576
	ds_load_b128 v[28:31], v162 offset:9152
	;; [unrolled: 1-line block ×5, first 2 shown]
	v_cmp_gt_u32_e64 s0, 0x82, v62
	s_delay_alu instid0(VALU_DEP_1)
	s_and_saveexec_b32 s1, s0
	s_cbranch_execz .LBB0_29
; %bb.28:
	ds_load_b128 v[4:7], v162 offset:2496
	ds_load_b128 v[8:11], v162 offset:7072
	;; [unrolled: 1-line block ×6, first 2 shown]
.LBB0_29:
	s_or_b32 exec_lo, exec_lo, s1
	v_lshrrev_b16 v63, 11, v50
	s_mov_b32 s4, 0xe8584caa
	s_mov_b32 s5, 0x3febb67a
	;; [unrolled: 1-line block ×4, first 2 shown]
	v_mul_lo_u16 v50, v63, 26
	s_delay_alu instid0(VALU_DEP_1) | instskip(NEXT) | instid1(VALU_DEP_1)
	v_sub_nc_u16 v50, v62, v50
	v_and_b32_e32 v82, 0xff, v50
	s_delay_alu instid0(VALU_DEP_1) | instskip(NEXT) | instid1(VALU_DEP_1)
	v_mul_u32_u24_e32 v50, 5, v82
	v_lshlrev_b32_e32 v58, 4, v50
	s_clause 0x4
	global_load_b128 v[50:53], v58, s[8:9] offset:240
	global_load_b128 v[54:57], v58, s[8:9] offset:272
	;; [unrolled: 1-line block ×5, first 2 shown]
	s_waitcnt vmcnt(0) lgkmcnt(0)
	s_barrier
	buffer_gl0_inv
	v_mul_f64 v[58:59], v[42:43], v[52:53]
	v_mul_f64 v[52:53], v[40:41], v[52:53]
	;; [unrolled: 1-line block ×6, first 2 shown]
	v_fma_f64 v[40:41], v[40:41], v[50:51], -v[58:59]
	v_fma_f64 v[42:43], v[42:43], v[50:51], v[52:53]
	v_fma_f64 v[46:47], v[46:47], v[54:55], v[78:79]
	v_fma_f64 v[44:45], v[44:45], v[54:55], -v[56:57]
	v_mul_f64 v[50:51], v[30:31], v[72:73]
	v_mul_f64 v[52:53], v[28:29], v[72:73]
	;; [unrolled: 1-line block ×4, first 2 shown]
	v_fma_f64 v[36:37], v[36:37], v[66:67], -v[80:81]
	v_fma_f64 v[38:39], v[38:39], v[66:67], v[68:69]
	v_add_f64 v[58:59], v[42:43], v[46:47]
	v_add_f64 v[66:67], v[40:41], v[44:45]
	v_fma_f64 v[28:29], v[28:29], v[70:71], -v[50:51]
	v_fma_f64 v[30:31], v[30:31], v[70:71], v[52:53]
	v_fma_f64 v[32:33], v[32:33], v[74:75], -v[54:55]
	v_fma_f64 v[34:35], v[34:35], v[74:75], v[56:57]
	v_add_f64 v[50:51], v[42:43], -v[46:47]
	v_add_f64 v[52:53], v[40:41], -v[44:45]
	v_fma_f64 v[54:55], v[58:59], -0.5, v[38:39]
	v_fma_f64 v[56:57], v[66:67], -0.5, v[36:37]
	v_add_f64 v[36:37], v[36:37], v[40:41]
	v_add_f64 v[38:39], v[38:39], v[42:43]
	v_add_f64 v[58:59], v[28:29], v[32:33]
	v_add_f64 v[66:67], v[30:31], v[34:35]
	v_fma_f64 v[68:69], v[52:53], s[10:11], v[54:55]
	v_fma_f64 v[70:71], v[50:51], s[10:11], v[56:57]
	;; [unrolled: 1-line block ×4, first 2 shown]
	v_add_f64 v[54:55], v[24:25], v[28:29]
	v_add_f64 v[56:57], v[30:31], -v[34:35]
	v_add_f64 v[30:31], v[26:27], v[30:31]
	v_fma_f64 v[24:25], v[58:59], -0.5, v[24:25]
	v_add_f64 v[28:29], v[28:29], -v[32:33]
	v_fma_f64 v[26:27], v[66:67], -0.5, v[26:27]
	v_mul_f64 v[40:41], v[68:69], s[4:5]
	v_mul_f64 v[42:43], v[70:71], -0.5
	v_mul_f64 v[58:59], v[50:51], s[10:11]
	v_mul_f64 v[66:67], v[52:53], -0.5
	v_add_f64 v[32:33], v[54:55], v[32:33]
	v_add_f64 v[30:31], v[30:31], v[34:35]
	;; [unrolled: 1-line block ×4, first 2 shown]
	v_fma_f64 v[44:45], v[56:57], s[4:5], v[24:25]
	v_fma_f64 v[54:55], v[28:29], s[10:11], v[26:27]
	;; [unrolled: 1-line block ×4, first 2 shown]
	v_fma_f64 v[40:41], v[50:51], 0.5, v[40:41]
	v_fma_f64 v[42:43], v[52:53], s[4:5], v[42:43]
	v_fma_f64 v[50:51], v[68:69], 0.5, v[58:59]
	v_fma_f64 v[52:53], v[70:71], s[10:11], v[66:67]
	v_add_f64 v[24:25], v[32:33], v[34:35]
	v_add_f64 v[26:27], v[30:31], v[36:37]
	v_add_f64 v[28:29], v[32:33], -v[34:35]
	v_add_f64 v[30:31], v[30:31], -v[36:37]
	v_add_f64 v[32:33], v[44:45], v[40:41]
	v_add_f64 v[36:37], v[46:47], v[42:43]
	;; [unrolled: 1-line block ×4, first 2 shown]
	v_add_f64 v[40:41], v[44:45], -v[40:41]
	v_add_f64 v[44:45], v[46:47], -v[42:43]
	;; [unrolled: 1-line block ×4, first 2 shown]
	v_and_b32_e32 v50, 0xffff, v63
	v_lshlrev_b32_e32 v51, 4, v82
	s_delay_alu instid0(VALU_DEP_2) | instskip(NEXT) | instid1(VALU_DEP_1)
	v_mul_u32_u24_e32 v50, 0x9c0, v50
	v_add3_u32 v50, 0, v50, v51
	ds_store_b128 v50, v[24:27]
	ds_store_b128 v50, v[32:35] offset:416
	ds_store_b128 v50, v[36:39] offset:832
	;; [unrolled: 1-line block ×5, first 2 shown]
	s_and_saveexec_b32 s1, s0
	s_cbranch_execz .LBB0_31
; %bb.30:
	v_lshrrev_b32_e32 v50, 19, v49
	s_delay_alu instid0(VALU_DEP_1) | instskip(NEXT) | instid1(VALU_DEP_1)
	v_mul_lo_u16 v24, v50, 26
	v_sub_nc_u16 v24, v48, v24
	s_delay_alu instid0(VALU_DEP_1) | instskip(NEXT) | instid1(VALU_DEP_1)
	v_and_b32_e32 v51, 0xffff, v24
	v_mul_u32_u24_e32 v24, 5, v51
	s_delay_alu instid0(VALU_DEP_1)
	v_lshlrev_b32_e32 v40, 4, v24
	s_clause 0x4
	global_load_b128 v[24:27], v40, s[8:9] offset:240
	global_load_b128 v[28:31], v40, s[8:9] offset:272
	global_load_b128 v[32:35], v40, s[8:9] offset:208
	global_load_b128 v[36:39], v40, s[8:9] offset:224
	global_load_b128 v[40:43], v40, s[8:9] offset:256
	s_waitcnt vmcnt(4)
	v_mul_f64 v[44:45], v[12:13], v[26:27]
	s_waitcnt vmcnt(3)
	v_mul_f64 v[46:47], v[20:21], v[30:31]
	v_mul_f64 v[26:27], v[14:15], v[26:27]
	v_mul_f64 v[30:31], v[22:23], v[30:31]
	s_waitcnt vmcnt(2)
	v_mul_f64 v[48:49], v[10:11], v[34:35]
	v_mul_f64 v[34:35], v[8:9], v[34:35]
	v_fma_f64 v[14:15], v[14:15], v[24:25], v[44:45]
	v_fma_f64 v[22:23], v[22:23], v[28:29], v[46:47]
	v_fma_f64 v[12:13], v[12:13], v[24:25], -v[26:27]
	v_fma_f64 v[20:21], v[20:21], v[28:29], -v[30:31]
	s_waitcnt vmcnt(1)
	v_mul_f64 v[24:25], v[18:19], v[38:39]
	v_mul_f64 v[26:27], v[16:17], v[38:39]
	s_waitcnt vmcnt(0)
	v_mul_f64 v[28:29], v[0:1], v[42:43]
	v_mul_f64 v[30:31], v[2:3], v[42:43]
	v_fma_f64 v[10:11], v[10:11], v[32:33], v[34:35]
	v_fma_f64 v[8:9], v[8:9], v[32:33], -v[48:49]
	v_add_f64 v[34:35], v[14:15], v[22:23]
	v_add_f64 v[32:33], v[12:13], v[20:21]
	v_fma_f64 v[16:17], v[16:17], v[36:37], -v[24:25]
	v_fma_f64 v[18:19], v[18:19], v[36:37], v[26:27]
	v_fma_f64 v[2:3], v[2:3], v[40:41], v[28:29]
	v_fma_f64 v[0:1], v[0:1], v[40:41], -v[30:31]
	v_add_f64 v[24:25], v[12:13], -v[20:21]
	v_add_f64 v[28:29], v[14:15], -v[22:23]
	v_fma_f64 v[26:27], v[34:35], -0.5, v[10:11]
	v_add_f64 v[10:11], v[10:11], v[14:15]
	v_fma_f64 v[30:31], v[32:33], -0.5, v[8:9]
	v_add_f64 v[14:15], v[4:5], v[16:17]
	v_add_f64 v[8:9], v[8:9], v[12:13]
	;; [unrolled: 1-line block ×4, first 2 shown]
	v_add_f64 v[12:13], v[18:19], -v[2:3]
	v_fma_f64 v[36:37], v[24:25], s[4:5], v[26:27]
	v_fma_f64 v[24:25], v[24:25], s[10:11], v[26:27]
	;; [unrolled: 1-line block ×4, first 2 shown]
	v_add_f64 v[30:31], v[6:7], v[18:19]
	v_add_f64 v[28:29], v[16:17], -v[0:1]
	v_fma_f64 v[6:7], v[32:33], -0.5, v[6:7]
	v_fma_f64 v[4:5], v[34:35], -0.5, v[4:5]
	v_add_f64 v[10:11], v[10:11], v[22:23]
	v_add_f64 v[14:15], v[14:15], v[0:1]
	;; [unrolled: 1-line block ×3, first 2 shown]
	v_mul_f64 v[16:17], v[36:37], -0.5
	v_mul_f64 v[32:33], v[24:25], s[4:5]
	v_mul_f64 v[18:19], v[38:39], s[10:11]
	v_mul_f64 v[34:35], v[26:27], -0.5
	v_add_f64 v[30:31], v[30:31], v[2:3]
	v_fma_f64 v[20:21], v[28:29], s[4:5], v[6:7]
	v_fma_f64 v[22:23], v[28:29], s[10:11], v[6:7]
	;; [unrolled: 1-line block ×3, first 2 shown]
	v_add_f64 v[0:1], v[14:15], -v[8:9]
	v_fma_f64 v[16:17], v[26:27], s[10:11], v[16:17]
	v_fma_f64 v[26:27], v[12:13], s[4:5], v[4:5]
	v_fma_f64 v[24:25], v[24:25], 0.5, v[18:19]
	v_fma_f64 v[32:33], v[38:39], 0.5, v[32:33]
	v_fma_f64 v[34:35], v[36:37], s[4:5], v[34:35]
	v_add_f64 v[6:7], v[30:31], v[10:11]
	v_add_f64 v[4:5], v[14:15], v[8:9]
	v_add_f64 v[2:3], v[30:31], -v[10:11]
	v_add_f64 v[10:11], v[20:21], -v[16:17]
	v_add_f64 v[14:15], v[20:21], v[16:17]
	v_add_f64 v[18:19], v[22:23], v[24:25]
	;; [unrolled: 1-line block ×4, first 2 shown]
	v_add_f64 v[22:23], v[22:23], -v[24:25]
	v_add_f64 v[20:21], v[26:27], -v[32:33]
	;; [unrolled: 1-line block ×3, first 2 shown]
	v_mul_lo_u16 v24, 0x9c, v50
	v_lshlrev_b32_e32 v25, 4, v51
	s_delay_alu instid0(VALU_DEP_2) | instskip(NEXT) | instid1(VALU_DEP_1)
	v_and_b32_e32 v24, 0xffff, v24
	v_lshlrev_b32_e32 v24, 4, v24
	s_delay_alu instid0(VALU_DEP_1)
	v_add3_u32 v24, 0, v25, v24
	ds_store_b128 v24, v[4:7]
	ds_store_b128 v24, v[16:19] offset:416
	ds_store_b128 v24, v[12:15] offset:832
	;; [unrolled: 1-line block ×5, first 2 shown]
.LBB0_31:
	s_or_b32 exec_lo, exec_lo, s1
	v_mul_u32_u24_e32 v0, 10, v62
	s_waitcnt lgkmcnt(0)
	s_barrier
	buffer_gl0_inv
	s_mov_b32 s18, 0xf8bb580b
	v_lshlrev_b32_e32 v4, 4, v0
	s_mov_b32 s19, 0xbfe14ced
	s_mov_b32 s15, 0xbfed1bb4
	s_mov_b32 s14, 0x8eee2c13
	s_mov_b32 s16, 0x43842ef
	s_clause 0x9
	global_load_b128 v[0:3], v4, s[8:9] offset:2288
	global_load_b128 v[6:9], v4, s[8:9] offset:2432
	;; [unrolled: 1-line block ×10, first 2 shown]
	ds_load_b128 v[42:45], v162 offset:2496
	ds_load_b128 v[46:49], v162 offset:24960
	;; [unrolled: 1-line block ×10, first 2 shown]
	s_mov_b32 s17, 0xbfefac9e
	s_mov_b32 s20, 0xbb3a28a1
	;; [unrolled: 1-line block ×21, first 2 shown]
	s_waitcnt vmcnt(9) lgkmcnt(9)
	v_mul_f64 v[4:5], v[44:45], v[2:3]
	v_mul_f64 v[2:3], v[42:43], v[2:3]
	s_waitcnt vmcnt(8) lgkmcnt(8)
	v_mul_f64 v[58:59], v[46:47], v[8:9]
	v_mul_f64 v[8:9], v[48:49], v[8:9]
	;; [unrolled: 3-line block ×7, first 2 shown]
	s_waitcnt vmcnt(2)
	v_mul_f64 v[100:101], v[76:77], v[32:33]
	v_mul_f64 v[32:33], v[74:75], v[32:33]
	s_waitcnt vmcnt(1) lgkmcnt(1)
	v_mul_f64 v[102:103], v[84:85], v[36:37]
	v_mul_f64 v[36:37], v[82:83], v[36:37]
	s_waitcnt vmcnt(0) lgkmcnt(0)
	v_mul_f64 v[104:105], v[88:89], v[40:41]
	v_mul_f64 v[40:41], v[86:87], v[40:41]
	v_fma_f64 v[42:43], v[42:43], v[0:1], -v[4:5]
	v_fma_f64 v[44:45], v[44:45], v[0:1], v[2:3]
	ds_load_b128 v[0:3], v162
	v_fma_f64 v[4:5], v[48:49], v[6:7], v[58:59]
	v_fma_f64 v[6:7], v[46:47], v[6:7], -v[8:9]
	v_fma_f64 v[46:47], v[50:51], v[10:11], -v[90:91]
	v_fma_f64 v[48:49], v[52:53], v[10:11], v[12:13]
	v_fma_f64 v[10:11], v[54:55], v[14:15], -v[16:17]
	v_fma_f64 v[52:53], v[66:67], v[18:19], -v[94:95]
	v_fma_f64 v[18:19], v[68:69], v[18:19], v[20:21]
	v_fma_f64 v[12:13], v[72:73], v[22:23], v[96:97]
	;; [unrolled: 1-line block ×3, first 2 shown]
	v_fma_f64 v[14:15], v[70:71], v[22:23], -v[24:25]
	v_fma_f64 v[20:21], v[78:79], v[26:27], -v[98:99]
	v_fma_f64 v[22:23], v[80:81], v[26:27], v[28:29]
	v_fma_f64 v[24:25], v[74:75], v[30:31], -v[100:101]
	v_fma_f64 v[26:27], v[76:77], v[30:31], v[32:33]
	;; [unrolled: 2-line block ×4, first 2 shown]
	s_waitcnt lgkmcnt(0)
	s_barrier
	buffer_gl0_inv
	v_add_f64 v[16:17], v[0:1], v[42:43]
	v_add_f64 v[50:51], v[2:3], v[44:45]
	v_add_f64 v[36:37], v[44:45], -v[4:5]
	v_add_f64 v[38:39], v[42:43], -v[6:7]
	v_add_f64 v[42:43], v[42:43], v[6:7]
	v_add_f64 v[44:45], v[44:45], v[4:5]
	v_add_f64 v[54:55], v[46:47], -v[10:11]
	v_add_f64 v[56:57], v[18:19], -v[12:13]
	v_add_f64 v[68:69], v[18:19], v[12:13]
	v_add_f64 v[40:41], v[48:49], -v[8:9]
	v_add_f64 v[58:59], v[52:53], -v[14:15]
	v_add_f64 v[66:67], v[52:53], v[14:15]
	v_add_f64 v[70:71], v[20:21], v[24:25]
	v_add_f64 v[72:73], v[22:23], -v[26:27]
	v_add_f64 v[74:75], v[20:21], -v[24:25]
	v_add_f64 v[76:77], v[22:23], v[26:27]
	v_add_f64 v[82:83], v[28:29], -v[32:33]
	v_add_f64 v[78:79], v[28:29], v[32:33]
	v_add_f64 v[80:81], v[30:31], v[34:35]
	v_add_f64 v[84:85], v[30:31], -v[34:35]
	v_add_f64 v[16:17], v[16:17], v[46:47]
	v_add_f64 v[50:51], v[50:51], v[48:49]
	;; [unrolled: 1-line block ×3, first 2 shown]
	v_mul_f64 v[86:87], v[36:37], s[18:19]
	v_mul_f64 v[88:89], v[38:39], s[18:19]
	;; [unrolled: 1-line block ×12, first 2 shown]
	s_mov_b32 s15, 0x3fed1bb4
	v_add_f64 v[48:49], v[48:49], v[8:9]
	v_mul_f64 v[106:107], v[40:41], s[20:21]
	v_mul_f64 v[108:109], v[54:55], s[20:21]
	;; [unrolled: 1-line block ×21, first 2 shown]
	v_add_f64 v[16:17], v[16:17], v[52:53]
	v_add_f64 v[18:19], v[50:51], v[18:19]
	v_mul_f64 v[50:51], v[40:41], s[26:27]
	v_mul_f64 v[52:53], v[54:55], s[26:27]
	;; [unrolled: 1-line block ×3, first 2 shown]
	v_fma_f64 v[163:164], v[42:43], s[4:5], -v[90:91]
	v_fma_f64 v[165:166], v[44:45], s[4:5], v[92:93]
	v_fma_f64 v[90:91], v[42:43], s[4:5], v[90:91]
	v_fma_f64 v[167:168], v[42:43], s[8:9], -v[94:95]
	v_fma_f64 v[169:170], v[44:45], s[8:9], v[96:97]
	v_fma_f64 v[94:95], v[42:43], s[8:9], v[94:95]
	v_fma_f64 v[171:172], v[42:43], s[10:11], -v[98:99]
	v_fma_f64 v[173:174], v[44:45], s[10:11], v[100:101]
	v_mul_f64 v[54:55], v[54:55], s[24:25]
	v_fma_f64 v[175:176], v[42:43], s[12:13], -v[36:37]
	v_fma_f64 v[177:178], v[44:45], s[12:13], v[38:39]
	v_fma_f64 v[98:99], v[42:43], s[10:11], v[98:99]
	;; [unrolled: 1-line block ×3, first 2 shown]
	v_fma_f64 v[38:39], v[44:45], s[12:13], -v[38:39]
	v_fma_f64 v[100:101], v[44:45], s[10:11], -v[100:101]
	;; [unrolled: 1-line block ×5, first 2 shown]
	v_fma_f64 v[181:182], v[48:49], s[10:11], v[108:109]
	v_fma_f64 v[106:107], v[46:47], s[10:11], v[106:107]
	v_fma_f64 v[187:188], v[46:47], s[8:9], -v[110:111]
	v_fma_f64 v[189:190], v[48:49], s[8:9], v[112:113]
	v_fma_f64 v[110:111], v[46:47], s[8:9], v[110:111]
	v_fma_f64 v[108:109], v[48:49], s[10:11], -v[108:109]
	v_mul_f64 v[136:137], v[74:75], s[28:29]
	v_fma_f64 v[191:192], v[66:67], s[12:13], -v[118:119]
	v_fma_f64 v[193:194], v[68:69], s[12:13], v[120:121]
	v_fma_f64 v[118:119], v[66:67], s[12:13], v[118:119]
	v_fma_f64 v[120:121], v[68:69], s[12:13], -v[120:121]
	v_fma_f64 v[195:196], v[66:67], s[0:1], -v[122:123]
	v_fma_f64 v[197:198], v[68:69], s[0:1], v[124:125]
	v_fma_f64 v[122:123], v[66:67], s[0:1], v[122:123]
	v_fma_f64 v[124:125], v[68:69], s[0:1], -v[124:125]
	v_add_f64 v[16:17], v[16:17], v[20:21]
	v_add_f64 v[18:19], v[18:19], v[22:23]
	v_mul_f64 v[20:21], v[82:83], s[14:15]
	v_fma_f64 v[22:23], v[42:43], s[0:1], -v[86:87]
	v_fma_f64 v[82:83], v[44:45], s[0:1], v[88:89]
	v_fma_f64 v[86:87], v[42:43], s[0:1], v[86:87]
	v_fma_f64 v[88:89], v[44:45], s[0:1], -v[88:89]
	v_fma_f64 v[42:43], v[46:47], s[4:5], -v[102:103]
	v_fma_f64 v[44:45], v[48:49], s[4:5], v[104:105]
	v_fma_f64 v[102:103], v[46:47], s[4:5], v[102:103]
	v_fma_f64 v[104:105], v[48:49], s[4:5], -v[104:105]
	v_add_f64 v[163:164], v[0:1], v[163:164]
	v_add_f64 v[165:166], v[2:3], v[165:166]
	v_fma_f64 v[183:184], v[46:47], s[12:13], -v[50:51]
	v_fma_f64 v[185:186], v[48:49], s[12:13], v[52:53]
	v_add_f64 v[90:91], v[0:1], v[90:91]
	v_add_f64 v[167:168], v[0:1], v[167:168]
	;; [unrolled: 1-line block ×3, first 2 shown]
	v_fma_f64 v[50:51], v[46:47], s[12:13], v[50:51]
	v_add_f64 v[94:95], v[0:1], v[94:95]
	v_add_f64 v[171:172], v[0:1], v[171:172]
	;; [unrolled: 1-line block ×6, first 2 shown]
	v_fma_f64 v[52:53], v[48:49], s[12:13], -v[52:53]
	v_add_f64 v[96:97], v[2:3], v[96:97]
	v_add_f64 v[92:93], v[2:3], v[92:93]
	v_fma_f64 v[203:204], v[66:67], s[4:5], -v[56:57]
	v_fma_f64 v[205:206], v[68:69], s[4:5], v[58:59]
	v_fma_f64 v[56:57], v[66:67], s[4:5], v[56:57]
	v_fma_f64 v[58:59], v[68:69], s[4:5], -v[58:59]
	v_mul_f64 v[138:139], v[72:73], s[18:19]
	v_mul_f64 v[140:141], v[74:75], s[18:19]
	;; [unrolled: 1-line block ×6, first 2 shown]
	v_add_f64 v[16:17], v[16:17], v[28:29]
	v_add_f64 v[18:19], v[18:19], v[30:31]
	v_fma_f64 v[28:29], v[48:49], s[8:9], -v[112:113]
	v_add_f64 v[22:23], v[0:1], v[22:23]
	v_fma_f64 v[30:31], v[46:47], s[0:1], -v[40:41]
	v_add_f64 v[86:87], v[0:1], v[86:87]
	v_add_f64 v[88:89], v[2:3], v[88:89]
	v_fma_f64 v[112:113], v[48:49], s[0:1], v[54:55]
	v_fma_f64 v[40:41], v[46:47], s[0:1], v[40:41]
	v_fma_f64 v[46:47], v[48:49], s[0:1], -v[54:55]
	v_add_f64 v[0:1], v[0:1], v[36:37]
	v_add_f64 v[36:37], v[2:3], v[38:39]
	;; [unrolled: 1-line block ×4, first 2 shown]
	v_fma_f64 v[48:49], v[66:67], s[8:9], -v[114:115]
	v_fma_f64 v[54:55], v[68:69], s[8:9], v[116:117]
	v_fma_f64 v[114:115], v[66:67], s[8:9], v[114:115]
	v_fma_f64 v[116:117], v[68:69], s[8:9], -v[116:117]
	v_fma_f64 v[82:83], v[66:67], s[10:11], v[126:127]
	v_fma_f64 v[100:101], v[68:69], s[10:11], -v[128:129]
	v_add_f64 v[50:51], v[50:51], v[94:95]
	v_add_f64 v[94:95], v[187:188], v[171:172]
	v_mul_f64 v[150:151], v[84:85], s[24:25]
	v_fma_f64 v[199:200], v[70:71], s[8:9], -v[134:135]
	v_add_f64 v[98:99], v[110:111], v[98:99]
	v_fma_f64 v[201:202], v[76:77], s[8:9], v[136:137]
	v_mul_f64 v[146:147], v[84:85], s[22:23]
	v_mul_f64 v[154:155], v[84:85], s[20:21]
	v_fma_f64 v[134:135], v[70:71], s[8:9], v[134:135]
	v_fma_f64 v[136:137], v[76:77], s[8:9], -v[136:137]
	v_mul_f64 v[158:159], v[84:85], s[16:17]
	v_mul_f64 v[84:85], v[84:85], s[14:15]
	v_add_f64 v[16:17], v[16:17], v[32:33]
	v_add_f64 v[18:19], v[18:19], v[34:35]
	v_fma_f64 v[32:33], v[66:67], s[10:11], -v[126:127]
	v_fma_f64 v[34:35], v[68:69], s[10:11], v[128:129]
	v_add_f64 v[22:23], v[42:43], v[22:23]
	v_add_f64 v[42:43], v[102:103], v[86:87]
	;; [unrolled: 1-line block ×17, first 2 shown]
	v_fma_f64 v[126:127], v[70:71], s[10:11], -v[130:131]
	v_fma_f64 v[128:129], v[76:77], s[10:11], v[132:133]
	v_fma_f64 v[130:131], v[70:71], s[10:11], v[130:131]
	v_fma_f64 v[132:133], v[76:77], s[10:11], -v[132:133]
	v_fma_f64 v[44:45], v[70:71], s[0:1], v[138:139]
	v_fma_f64 v[46:47], v[76:77], s[0:1], -v[140:141]
	v_fma_f64 v[52:53], v[70:71], s[12:13], -v[142:143]
	v_fma_f64 v[92:93], v[76:77], s[12:13], v[144:145]
	v_fma_f64 v[96:97], v[70:71], s[12:13], v[142:143]
	v_fma_f64 v[108:109], v[76:77], s[12:13], -v[144:145]
	v_fma_f64 v[142:143], v[70:71], s[4:5], -v[72:73]
	v_fma_f64 v[144:145], v[76:77], s[4:5], v[74:75]
	v_add_f64 v[50:51], v[56:57], v[50:51]
	v_add_f64 v[56:57], v[195:196], v[94:95]
	v_fma_f64 v[112:113], v[80:81], s[12:13], v[148:149]
	v_fma_f64 v[110:111], v[78:79], s[12:13], -v[146:147]
	v_fma_f64 v[94:95], v[78:79], s[10:11], v[154:155]
	v_add_f64 v[16:17], v[16:17], v[24:25]
	v_add_f64 v[18:19], v[18:19], v[26:27]
	v_fma_f64 v[24:25], v[70:71], s[0:1], -v[138:139]
	v_fma_f64 v[26:27], v[76:77], s[0:1], v[140:141]
	v_add_f64 v[22:23], v[48:49], v[22:23]
	v_add_f64 v[42:43], v[114:115], v[42:43]
	;; [unrolled: 1-line block ×5, first 2 shown]
	v_fma_f64 v[70:71], v[70:71], s[4:5], v[72:73]
	v_fma_f64 v[72:73], v[76:77], s[4:5], -v[74:75]
	v_add_f64 v[76:77], v[203:204], v[90:91]
	v_add_f64 v[86:87], v[205:206], v[102:103]
	;; [unrolled: 1-line block ×13, first 2 shown]
	v_fma_f64 v[140:141], v[80:81], s[12:13], -v[148:149]
	v_fma_f64 v[54:55], v[80:81], s[0:1], -v[152:153]
	v_fma_f64 v[82:83], v[80:81], s[10:11], v[156:157]
	v_fma_f64 v[98:99], v[80:81], s[10:11], -v[156:157]
	v_fma_f64 v[102:103], v[80:81], s[8:9], v[160:161]
	;; [unrolled: 2-line block ×3, first 2 shown]
	v_fma_f64 v[138:139], v[78:79], s[12:13], v[146:147]
	v_fma_f64 v[58:59], v[78:79], s[10:11], -v[154:155]
	v_fma_f64 v[114:115], v[78:79], s[4:5], -v[84:85]
	v_add_f64 v[44:45], v[44:45], v[50:51]
	v_add_f64 v[50:51], v[52:53], v[56:57]
	v_fma_f64 v[100:101], v[78:79], s[8:9], -v[158:159]
	v_fma_f64 v[40:41], v[78:79], s[0:1], v[150:151]
	v_add_f64 v[14:15], v[16:17], v[14:15]
	v_add_f64 v[12:13], v[18:19], v[12:13]
	v_fma_f64 v[16:17], v[78:79], s[0:1], -v[150:151]
	v_fma_f64 v[18:19], v[80:81], s[0:1], v[152:153]
	v_fma_f64 v[80:81], v[80:81], s[4:5], -v[20:21]
	v_add_f64 v[20:21], v[126:127], v[22:23]
	v_add_f64 v[22:23], v[130:131], v[42:43]
	;; [unrolled: 1-line block ×5, first 2 shown]
	v_fma_f64 v[104:105], v[78:79], s[8:9], v[158:159]
	v_add_f64 v[24:25], v[24:25], v[76:77]
	v_add_f64 v[26:27], v[26:27], v[86:87]
	;; [unrolled: 1-line block ×8, first 2 shown]
	v_fma_f64 v[78:79], v[78:79], s[4:5], v[84:85]
	v_add_f64 v[56:57], v[96:97], v[90:91]
	v_add_f64 v[72:73], v[108:109], v[28:29]
	;; [unrolled: 1-line block ×29, first 2 shown]
	ds_store_b128 v162, v[12:15] offset:4992
	ds_store_b128 v162, v[20:23] offset:7488
	;; [unrolled: 1-line block ×9, first 2 shown]
	ds_store_b128 v162, v[44:47]
	ds_store_b128 v162, v[0:3] offset:2496
	s_waitcnt lgkmcnt(0)
	s_barrier
	buffer_gl0_inv
	s_and_saveexec_b32 s0, vcc_lo
	s_cbranch_execz .LBB0_33
; %bb.32:
	v_mul_lo_u32 v2, s3, v64
	v_mul_lo_u32 v3, s2, v65
	v_mad_u64_u32 v[0:1], null, s2, v64, 0
	v_lshl_add_u32 v28, v62, 4, 0
	v_dual_mov_b32 v63, 0 :: v_dual_add_nc_u32 v12, 0x9c, v62
	v_lshlrev_b64 v[8:9], 4, v[60:61]
	v_add_nc_u32_e32 v22, 0x30c, v62
	s_delay_alu instid0(VALU_DEP_3) | instskip(SKIP_4) | instid1(VALU_DEP_4)
	v_dual_mov_b32 v25, v63 :: v_dual_add_nc_u32 v24, 0x3a8, v62
	v_add3_u32 v1, v1, v3, v2
	v_mov_b32_e32 v13, v63
	v_lshlrev_b64 v[14:15], 4, v[62:63]
	v_mov_b32_e32 v23, v63
	v_lshlrev_b64 v[10:11], 4, v[0:1]
	ds_load_b128 v[0:3], v28
	ds_load_b128 v[4:7], v28 offset:2496
	v_lshlrev_b64 v[22:23], 4, v[22:23]
	v_add_co_u32 v10, vcc_lo, s6, v10
	v_add_co_ci_u32_e32 v11, vcc_lo, s7, v11, vcc_lo
	s_delay_alu instid0(VALU_DEP_2) | instskip(NEXT) | instid1(VALU_DEP_2)
	v_add_co_u32 v30, vcc_lo, v10, v8
	v_add_co_ci_u32_e32 v31, vcc_lo, v11, v9, vcc_lo
	v_lshlrev_b64 v[8:9], 4, v[12:13]
	v_add_nc_u32_e32 v12, 0x138, v62
	s_delay_alu instid0(VALU_DEP_4) | instskip(NEXT) | instid1(VALU_DEP_4)
	v_add_co_u32 v10, vcc_lo, v30, v14
	v_add_co_ci_u32_e32 v11, vcc_lo, v31, v15, vcc_lo
	s_delay_alu instid0(VALU_DEP_4)
	v_add_co_u32 v8, vcc_lo, v30, v8
	v_add_co_ci_u32_e32 v9, vcc_lo, v31, v9, vcc_lo
	s_waitcnt lgkmcnt(1)
	global_store_b128 v[10:11], v[0:3], off
	s_waitcnt lgkmcnt(0)
	global_store_b128 v[8:9], v[4:7], off
	v_lshlrev_b64 v[0:1], 4, v[12:13]
	v_dual_mov_b32 v9, v63 :: v_dual_add_nc_u32 v8, 0x1d4, v62
	v_dual_mov_b32 v11, v63 :: v_dual_add_nc_u32 v10, 0x270, v62
	s_delay_alu instid0(VALU_DEP_3) | instskip(NEXT) | instid1(VALU_DEP_4)
	v_add_co_u32 v16, vcc_lo, v30, v0
	v_add_co_ci_u32_e32 v17, vcc_lo, v31, v1, vcc_lo
	ds_load_b128 v[0:3], v28 offset:4992
	ds_load_b128 v[4:7], v28 offset:7488
	v_lshlrev_b64 v[18:19], 4, v[8:9]
	v_lshlrev_b64 v[20:21], 4, v[10:11]
	ds_load_b128 v[8:11], v28 offset:9984
	ds_load_b128 v[12:15], v28 offset:12480
	v_add_co_u32 v18, vcc_lo, v30, v18
	v_add_co_ci_u32_e32 v19, vcc_lo, v31, v19, vcc_lo
	v_add_co_u32 v20, vcc_lo, v30, v20
	v_add_co_ci_u32_e32 v21, vcc_lo, v31, v21, vcc_lo
	v_add_co_u32 v22, vcc_lo, v30, v22
	s_waitcnt lgkmcnt(3)
	global_store_b128 v[16:17], v[0:3], off
	s_waitcnt lgkmcnt(2)
	global_store_b128 v[18:19], v[4:7], off
	v_dual_mov_b32 v3, v63 :: v_dual_add_nc_u32 v2, 0x444, v62
	v_add_co_ci_u32_e32 v23, vcc_lo, v31, v23, vcc_lo
	v_lshlrev_b64 v[0:1], 4, v[24:25]
	s_waitcnt lgkmcnt(1)
	global_store_b128 v[20:21], v[8:11], off
	s_waitcnt lgkmcnt(0)
	global_store_b128 v[22:23], v[12:15], off
	v_lshlrev_b64 v[8:9], 4, v[2:3]
	v_dual_mov_b32 v11, v63 :: v_dual_add_nc_u32 v10, 0x4e0, v62
	v_add_co_u32 v20, vcc_lo, v30, v0
	v_add_co_ci_u32_e32 v21, vcc_lo, v31, v1, vcc_lo
	s_delay_alu instid0(VALU_DEP_4)
	v_add_co_u32 v22, vcc_lo, v30, v8
	ds_load_b128 v[0:3], v28 offset:14976
	ds_load_b128 v[4:7], v28 offset:17472
	v_add_co_ci_u32_e32 v23, vcc_lo, v31, v9, vcc_lo
	v_lshlrev_b64 v[26:27], 4, v[10:11]
	ds_load_b128 v[8:11], v28 offset:19968
	ds_load_b128 v[12:15], v28 offset:22464
	;; [unrolled: 1-line block ×3, first 2 shown]
	v_add_nc_u32_e32 v24, 0x57c, v62
	v_add_nc_u32_e32 v62, 0x618, v62
	v_add_co_u32 v26, vcc_lo, v30, v26
	s_delay_alu instid0(VALU_DEP_3) | instskip(NEXT) | instid1(VALU_DEP_3)
	v_lshlrev_b64 v[24:25], 4, v[24:25]
	v_lshlrev_b64 v[28:29], 4, v[62:63]
	v_add_co_ci_u32_e32 v27, vcc_lo, v31, v27, vcc_lo
	s_delay_alu instid0(VALU_DEP_3) | instskip(NEXT) | instid1(VALU_DEP_4)
	v_add_co_u32 v24, vcc_lo, v30, v24
	v_add_co_ci_u32_e32 v25, vcc_lo, v31, v25, vcc_lo
	s_delay_alu instid0(VALU_DEP_4)
	v_add_co_u32 v28, vcc_lo, v30, v28
	v_add_co_ci_u32_e32 v29, vcc_lo, v31, v29, vcc_lo
	s_waitcnt lgkmcnt(4)
	global_store_b128 v[20:21], v[0:3], off
	s_waitcnt lgkmcnt(3)
	global_store_b128 v[22:23], v[4:7], off
	s_waitcnt lgkmcnt(2)
	global_store_b128 v[26:27], v[8:11], off
	s_waitcnt lgkmcnt(1)
	global_store_b128 v[24:25], v[12:15], off
	s_waitcnt lgkmcnt(0)
	global_store_b128 v[28:29], v[16:19], off
.LBB0_33:
	s_nop 0
	s_sendmsg sendmsg(MSG_DEALLOC_VGPRS)
	s_endpgm
	.section	.rodata,"a",@progbits
	.p2align	6, 0x0
	.amdhsa_kernel fft_rtc_fwd_len1716_factors_13_2_6_11_wgs_156_tpt_156_dp_op_CI_CI_unitstride_sbrr_C2R_dirReg
		.amdhsa_group_segment_fixed_size 0
		.amdhsa_private_segment_fixed_size 0
		.amdhsa_kernarg_size 104
		.amdhsa_user_sgpr_count 15
		.amdhsa_user_sgpr_dispatch_ptr 0
		.amdhsa_user_sgpr_queue_ptr 0
		.amdhsa_user_sgpr_kernarg_segment_ptr 1
		.amdhsa_user_sgpr_dispatch_id 0
		.amdhsa_user_sgpr_private_segment_size 0
		.amdhsa_wavefront_size32 1
		.amdhsa_uses_dynamic_stack 0
		.amdhsa_enable_private_segment 0
		.amdhsa_system_sgpr_workgroup_id_x 1
		.amdhsa_system_sgpr_workgroup_id_y 0
		.amdhsa_system_sgpr_workgroup_id_z 0
		.amdhsa_system_sgpr_workgroup_info 0
		.amdhsa_system_vgpr_workitem_id 0
		.amdhsa_next_free_vgpr 239
		.amdhsa_next_free_sgpr 46
		.amdhsa_reserve_vcc 1
		.amdhsa_float_round_mode_32 0
		.amdhsa_float_round_mode_16_64 0
		.amdhsa_float_denorm_mode_32 3
		.amdhsa_float_denorm_mode_16_64 3
		.amdhsa_dx10_clamp 1
		.amdhsa_ieee_mode 1
		.amdhsa_fp16_overflow 0
		.amdhsa_workgroup_processor_mode 1
		.amdhsa_memory_ordered 1
		.amdhsa_forward_progress 0
		.amdhsa_shared_vgpr_count 0
		.amdhsa_exception_fp_ieee_invalid_op 0
		.amdhsa_exception_fp_denorm_src 0
		.amdhsa_exception_fp_ieee_div_zero 0
		.amdhsa_exception_fp_ieee_overflow 0
		.amdhsa_exception_fp_ieee_underflow 0
		.amdhsa_exception_fp_ieee_inexact 0
		.amdhsa_exception_int_div_zero 0
	.end_amdhsa_kernel
	.text
.Lfunc_end0:
	.size	fft_rtc_fwd_len1716_factors_13_2_6_11_wgs_156_tpt_156_dp_op_CI_CI_unitstride_sbrr_C2R_dirReg, .Lfunc_end0-fft_rtc_fwd_len1716_factors_13_2_6_11_wgs_156_tpt_156_dp_op_CI_CI_unitstride_sbrr_C2R_dirReg
                                        ; -- End function
	.section	.AMDGPU.csdata,"",@progbits
; Kernel info:
; codeLenInByte = 13976
; NumSgprs: 48
; NumVgprs: 239
; ScratchSize: 0
; MemoryBound: 0
; FloatMode: 240
; IeeeMode: 1
; LDSByteSize: 0 bytes/workgroup (compile time only)
; SGPRBlocks: 5
; VGPRBlocks: 29
; NumSGPRsForWavesPerEU: 48
; NumVGPRsForWavesPerEU: 239
; Occupancy: 6
; WaveLimiterHint : 1
; COMPUTE_PGM_RSRC2:SCRATCH_EN: 0
; COMPUTE_PGM_RSRC2:USER_SGPR: 15
; COMPUTE_PGM_RSRC2:TRAP_HANDLER: 0
; COMPUTE_PGM_RSRC2:TGID_X_EN: 1
; COMPUTE_PGM_RSRC2:TGID_Y_EN: 0
; COMPUTE_PGM_RSRC2:TGID_Z_EN: 0
; COMPUTE_PGM_RSRC2:TIDIG_COMP_CNT: 0
	.text
	.p2alignl 7, 3214868480
	.fill 96, 4, 3214868480
	.type	__hip_cuid_eddb220f9743be4c,@object ; @__hip_cuid_eddb220f9743be4c
	.section	.bss,"aw",@nobits
	.globl	__hip_cuid_eddb220f9743be4c
__hip_cuid_eddb220f9743be4c:
	.byte	0                               ; 0x0
	.size	__hip_cuid_eddb220f9743be4c, 1

	.ident	"AMD clang version 19.0.0git (https://github.com/RadeonOpenCompute/llvm-project roc-6.4.0 25133 c7fe45cf4b819c5991fe208aaa96edf142730f1d)"
	.section	".note.GNU-stack","",@progbits
	.addrsig
	.addrsig_sym __hip_cuid_eddb220f9743be4c
	.amdgpu_metadata
---
amdhsa.kernels:
  - .args:
      - .actual_access:  read_only
        .address_space:  global
        .offset:         0
        .size:           8
        .value_kind:     global_buffer
      - .offset:         8
        .size:           8
        .value_kind:     by_value
      - .actual_access:  read_only
        .address_space:  global
        .offset:         16
        .size:           8
        .value_kind:     global_buffer
      - .actual_access:  read_only
        .address_space:  global
        .offset:         24
        .size:           8
        .value_kind:     global_buffer
      - .actual_access:  read_only
        .address_space:  global
        .offset:         32
        .size:           8
        .value_kind:     global_buffer
      - .offset:         40
        .size:           8
        .value_kind:     by_value
      - .actual_access:  read_only
        .address_space:  global
        .offset:         48
        .size:           8
        .value_kind:     global_buffer
      - .actual_access:  read_only
        .address_space:  global
        .offset:         56
        .size:           8
        .value_kind:     global_buffer
      - .offset:         64
        .size:           4
        .value_kind:     by_value
      - .actual_access:  read_only
        .address_space:  global
        .offset:         72
        .size:           8
        .value_kind:     global_buffer
      - .actual_access:  read_only
        .address_space:  global
        .offset:         80
        .size:           8
        .value_kind:     global_buffer
      - .actual_access:  read_only
        .address_space:  global
        .offset:         88
        .size:           8
        .value_kind:     global_buffer
      - .actual_access:  write_only
        .address_space:  global
        .offset:         96
        .size:           8
        .value_kind:     global_buffer
    .group_segment_fixed_size: 0
    .kernarg_segment_align: 8
    .kernarg_segment_size: 104
    .language:       OpenCL C
    .language_version:
      - 2
      - 0
    .max_flat_workgroup_size: 156
    .name:           fft_rtc_fwd_len1716_factors_13_2_6_11_wgs_156_tpt_156_dp_op_CI_CI_unitstride_sbrr_C2R_dirReg
    .private_segment_fixed_size: 0
    .sgpr_count:     48
    .sgpr_spill_count: 0
    .symbol:         fft_rtc_fwd_len1716_factors_13_2_6_11_wgs_156_tpt_156_dp_op_CI_CI_unitstride_sbrr_C2R_dirReg.kd
    .uniform_work_group_size: 1
    .uses_dynamic_stack: false
    .vgpr_count:     239
    .vgpr_spill_count: 0
    .wavefront_size: 32
    .workgroup_processor_mode: 1
amdhsa.target:   amdgcn-amd-amdhsa--gfx1100
amdhsa.version:
  - 1
  - 2
...

	.end_amdgpu_metadata
